;; amdgpu-corpus repo=ROCm/rocFFT kind=compiled arch=gfx1201 opt=O3
	.text
	.amdgcn_target "amdgcn-amd-amdhsa--gfx1201"
	.amdhsa_code_object_version 6
	.protected	bluestein_single_fwd_len2304_dim1_dp_op_CI_CI ; -- Begin function bluestein_single_fwd_len2304_dim1_dp_op_CI_CI
	.globl	bluestein_single_fwd_len2304_dim1_dp_op_CI_CI
	.p2align	8
	.type	bluestein_single_fwd_len2304_dim1_dp_op_CI_CI,@function
bluestein_single_fwd_len2304_dim1_dp_op_CI_CI: ; @bluestein_single_fwd_len2304_dim1_dp_op_CI_CI
; %bb.0:
	s_load_b128 s[16:19], s[0:1], 0x28
	v_mul_u32_u24_e32 v1, 0x156, v0
	s_mov_b32 s2, exec_lo
	v_mov_b32_e32 v3, 0
	s_delay_alu instid0(VALU_DEP_2) | instskip(NEXT) | instid1(VALU_DEP_1)
	v_lshrrev_b32_e32 v1, 16, v1
	v_add_nc_u32_e32 v2, ttmp9, v1
	s_wait_kmcnt 0x0
	s_delay_alu instid0(VALU_DEP_1)
	v_cmpx_gt_u64_e64 s[16:17], v[2:3]
	s_cbranch_execz .LBB0_2
; %bb.1:
	s_clause 0x1
	s_load_b128 s[4:7], s[0:1], 0x18
	s_load_b128 s[8:11], s[0:1], 0x0
	v_mul_lo_u16 v1, 0xc0, v1
	s_load_b64 s[0:1], s[0:1], 0x38
	v_mov_b32_e32 v6, v2
	s_delay_alu instid0(VALU_DEP_2) | instskip(SKIP_3) | instid1(VALU_DEP_2)
	v_sub_nc_u16 v160, v0, v1
	scratch_store_b64 off, v[6:7], off      ; 8-byte Folded Spill
	v_and_b32_e32 v197, 0xffff, v160
	v_and_b32_e32 v112, 0xff, v160
	v_lshlrev_b32_e32 v199, 4, v197
	v_or_b32_e32 v198, 0x600, v197
	v_or_b32_e32 v200, 0x300, v197
	s_wait_kmcnt 0x0
	s_load_b128 s[12:15], s[4:5], 0x0
	v_add_co_u32 v136, null, 0xc0, v197
	global_load_b128 v[17:20], v199, s[8:9]
	v_add_co_u32 v148, null, 0x180, v197
	v_and_b32_e32 v113, 0xffff, v136
	s_wait_kmcnt 0x0
	v_mad_co_u64_u32 v[0:1], null, s14, v2, 0
	v_mad_co_u64_u32 v[2:3], null, s12, v197, 0
	;; [unrolled: 1-line block ×3, first 2 shown]
	s_mul_u64 s[2:3], s[12:13], 0x1800
	s_mul_i32 s4, s13, 0x3000
	s_delay_alu instid0(VALU_DEP_2) | instskip(NEXT) | instid1(VALU_DEP_2)
	v_mad_co_u64_u32 v[6:7], null, s15, v6, v[1:2]
	v_mov_b32_e32 v1, v5
	s_delay_alu instid0(VALU_DEP_3) | instskip(SKIP_1) | instid1(VALU_DEP_1)
	v_mad_co_u64_u32 v[7:8], null, s13, v197, v[3:4]
	s_wait_loadcnt 0x0
	v_dual_mov_b32 v3, v7 :: v_dual_mov_b32 v28, v20
	s_delay_alu instid0(VALU_DEP_3) | instskip(SKIP_1) | instid1(VALU_DEP_3)
	v_mad_co_u64_u32 v[8:9], null, s13, v198, v[1:2]
	v_dual_mov_b32 v1, v6 :: v_dual_mov_b32 v26, v18
	v_lshlrev_b64_e32 v[2:3], 4, v[2:3]
	v_mov_b32_e32 v27, v19
	v_mov_b32_e32 v25, v17
	s_delay_alu instid0(VALU_DEP_4) | instskip(SKIP_1) | instid1(VALU_DEP_2)
	v_lshlrev_b64_e32 v[0:1], 4, v[0:1]
	v_mov_b32_e32 v5, v8
	v_add_co_u32 v6, vcc_lo, s18, v0
	s_delay_alu instid0(VALU_DEP_3) | instskip(NEXT) | instid1(VALU_DEP_3)
	v_add_co_ci_u32_e32 v16, vcc_lo, s19, v1, vcc_lo
	v_lshlrev_b64_e32 v[0:1], 4, v[4:5]
	s_delay_alu instid0(VALU_DEP_3) | instskip(SKIP_1) | instid1(VALU_DEP_3)
	v_add_co_u32 v2, vcc_lo, v6, v2
	s_wait_alu 0xfffd
	v_add_co_ci_u32_e32 v3, vcc_lo, v16, v3, vcc_lo
	s_delay_alu instid0(VALU_DEP_3)
	v_add_co_u32 v0, vcc_lo, v6, v0
	s_wait_alu 0xfffd
	v_add_co_ci_u32_e32 v1, vcc_lo, v16, v1, vcc_lo
	global_load_b128 v[8:11], v[2:3], off
	global_load_b128 v[21:24], v199, s[8:9] offset:24576
	global_load_b128 v[12:15], v[0:1], off
	v_mad_co_u64_u32 v[0:1], null, s12, v200, 0
	s_wait_loadcnt 0x1
	s_clause 0x1
	scratch_store_b128 off, v[21:24], off offset:8
	scratch_store_b128 off, v[25:28], off offset:88
	v_mad_co_u64_u32 v[4:5], null, s13, v200, v[1:2]
	s_delay_alu instid0(VALU_DEP_1) | instskip(SKIP_1) | instid1(VALU_DEP_2)
	v_mov_b32_e32 v1, v4
	v_mul_f64_e32 v[4:5], v[10:11], v[19:20]
	v_lshlrev_b64_e32 v[0:1], 4, v[0:1]
	s_delay_alu instid0(VALU_DEP_1) | instskip(SKIP_2) | instid1(VALU_DEP_3)
	v_add_co_u32 v0, vcc_lo, v6, v0
	v_mul_f64_e32 v[6:7], v[8:9], v[19:20]
	s_wait_alu 0xfffd
	v_add_co_ci_u32_e32 v1, vcc_lo, v16, v1, vcc_lo
	s_wait_loadcnt 0x0
	v_mul_f64_e32 v[16:17], v[14:15], v[23:24]
	v_mul_f64_e32 v[18:19], v[12:13], v[23:24]
	v_fma_f64 v[48:49], v[8:9], v[25:26], v[4:5]
	v_fma_f64 v[50:51], v[10:11], v[25:26], -v[6:7]
	global_load_b128 v[6:9], v199, s[8:9] offset:12288
	v_fma_f64 v[52:53], v[12:13], v[21:22], v[16:17]
	v_fma_f64 v[54:55], v[14:15], v[21:22], -v[18:19]
	global_load_b128 v[12:15], v[0:1], off
	s_wait_loadcnt 0x1
	scratch_store_b128 off, v[6:9], off offset:24 ; 16-byte Folded Spill
	s_wait_loadcnt 0x0
	v_mul_f64_e32 v[0:1], v[14:15], v[8:9]
	v_mul_f64_e32 v[4:5], v[12:13], v[8:9]
	s_delay_alu instid0(VALU_DEP_2) | instskip(SKIP_3) | instid1(VALU_DEP_4)
	v_fma_f64 v[56:57], v[12:13], v[6:7], v[0:1]
	v_add_co_u32 v0, vcc_lo, v2, s2
	s_wait_alu 0xfffd
	v_add_co_ci_u32_e32 v1, vcc_lo, s3, v3, vcc_lo
	v_fma_f64 v[58:59], v[14:15], v[6:7], -v[4:5]
	global_load_b128 v[6:9], v199, s[8:9] offset:6144
	global_load_b128 v[12:15], v[0:1], off
	v_mad_co_u64_u32 v[0:1], null, 0x3000, s12, v[0:1]
	s_delay_alu instid0(VALU_DEP_1)
	v_add_nc_u32_e32 v1, s4, v1
	s_wait_loadcnt 0x1
	scratch_store_b128 off, v[6:9], off offset:72 ; 16-byte Folded Spill
	s_wait_loadcnt 0x0
	v_mul_f64_e32 v[2:3], v[14:15], v[8:9]
	v_mul_f64_e32 v[4:5], v[12:13], v[8:9]
	s_delay_alu instid0(VALU_DEP_2) | instskip(NEXT) | instid1(VALU_DEP_2)
	v_fma_f64 v[60:61], v[12:13], v[6:7], v[2:3]
	v_fma_f64 v[62:63], v[14:15], v[6:7], -v[4:5]
	global_load_b128 v[6:9], v199, s[8:9] offset:18432
	global_load_b128 v[12:15], v[0:1], off
	v_mad_co_u64_u32 v[0:1], null, 0x3000, s12, v[0:1]
	s_delay_alu instid0(VALU_DEP_1)
	v_add_nc_u32_e32 v1, s4, v1
	s_mul_i32 s4, s13, 0xffff9400
	s_mov_b32 s13, 0xbfebb67a
	s_wait_alu 0xfffe
	s_sub_co_i32 s4, s4, s12
	global_load_b128 v[24:27], v[0:1], off
	v_mad_co_u64_u32 v[0:1], null, 0xffff9400, s12, v[0:1]
	s_wait_alu 0xfffe
	s_delay_alu instid0(VALU_DEP_1)
	v_add_nc_u32_e32 v1, s4, v1
	s_wait_loadcnt 0x2
	scratch_store_b128 off, v[6:9], off offset:56 ; 16-byte Folded Spill
	s_wait_loadcnt 0x1
	v_mul_f64_e32 v[2:3], v[14:15], v[8:9]
	v_mul_f64_e32 v[4:5], v[12:13], v[8:9]
	s_delay_alu instid0(VALU_DEP_2) | instskip(NEXT) | instid1(VALU_DEP_2)
	v_fma_f64 v[64:65], v[12:13], v[6:7], v[2:3]
	v_fma_f64 v[66:67], v[14:15], v[6:7], -v[4:5]
	global_load_b128 v[6:9], v199, s[8:9] offset:30720
	s_wait_loadcnt 0x0
	v_mul_f64_e32 v[2:3], v[26:27], v[8:9]
	v_mul_f64_e32 v[4:5], v[24:25], v[8:9]
	scratch_store_b128 off, v[6:9], off offset:40 ; 16-byte Folded Spill
	v_fma_f64 v[68:69], v[24:25], v[6:7], v[2:3]
	v_fma_f64 v[70:71], v[26:27], v[6:7], -v[4:5]
	global_load_b128 v[24:27], v199, s[8:9] offset:3072
	global_load_b128 v[28:31], v[0:1], off
	v_add_co_u32 v0, vcc_lo, v0, s2
	s_wait_alu 0xfffd
	v_add_co_ci_u32_e32 v1, vcc_lo, s3, v1, vcc_lo
	s_wait_loadcnt 0x0
	v_mul_f64_e32 v[2:3], v[30:31], v[26:27]
	v_mul_f64_e32 v[4:5], v[28:29], v[26:27]
	s_delay_alu instid0(VALU_DEP_2) | instskip(NEXT) | instid1(VALU_DEP_2)
	v_fma_f64 v[72:73], v[28:29], v[24:25], v[2:3]
	v_fma_f64 v[74:75], v[30:31], v[24:25], -v[4:5]
	global_load_b128 v[28:31], v199, s[8:9] offset:9216
	global_load_b128 v[32:35], v[0:1], off
	v_add_co_u32 v0, vcc_lo, v0, s2
	s_wait_alu 0xfffd
	v_add_co_ci_u32_e32 v1, vcc_lo, s3, v1, vcc_lo
	s_wait_loadcnt 0x0
	v_mul_f64_e32 v[2:3], v[34:35], v[30:31]
	v_mul_f64_e32 v[4:5], v[32:33], v[30:31]
	s_delay_alu instid0(VALU_DEP_2) | instskip(NEXT) | instid1(VALU_DEP_2)
	v_fma_f64 v[76:77], v[32:33], v[28:29], v[2:3]
	v_fma_f64 v[78:79], v[34:35], v[28:29], -v[4:5]
	global_load_b128 v[32:35], v199, s[8:9] offset:15360
	global_load_b128 v[36:39], v[0:1], off
	v_add_co_u32 v0, vcc_lo, v0, s2
	s_wait_alu 0xfffd
	v_add_co_ci_u32_e32 v1, vcc_lo, s3, v1, vcc_lo
	s_wait_loadcnt 0x0
	v_mul_f64_e32 v[2:3], v[38:39], v[34:35]
	v_mul_f64_e32 v[4:5], v[36:37], v[34:35]
	s_delay_alu instid0(VALU_DEP_2) | instskip(NEXT) | instid1(VALU_DEP_2)
	v_fma_f64 v[80:81], v[36:37], v[32:33], v[2:3]
	v_fma_f64 v[82:83], v[38:39], v[32:33], -v[4:5]
	global_load_b128 v[36:39], v199, s[8:9] offset:21504
	global_load_b128 v[40:43], v[0:1], off
	v_add_co_u32 v0, vcc_lo, v0, s2
	s_wait_alu 0xfffd
	v_add_co_ci_u32_e32 v1, vcc_lo, s3, v1, vcc_lo
	s_wait_loadcnt 0x0
	v_mul_f64_e32 v[2:3], v[42:43], v[38:39]
	v_mul_f64_e32 v[4:5], v[40:41], v[38:39]
	s_delay_alu instid0(VALU_DEP_2) | instskip(NEXT) | instid1(VALU_DEP_2)
	v_fma_f64 v[84:85], v[40:41], v[36:37], v[2:3]
	v_fma_f64 v[86:87], v[42:43], v[36:37], -v[4:5]
	global_load_b128 v[40:43], v199, s[8:9] offset:27648
	global_load_b128 v[44:47], v[0:1], off
	v_add_co_u32 v0, vcc_lo, v0, s2
	s_wait_alu 0xfffd
	v_add_co_ci_u32_e32 v1, vcc_lo, s3, v1, vcc_lo
	s_mov_b32 s2, 0xe8584caa
	s_mov_b32 s3, 0x3febb67a
	s_wait_alu 0xfffe
	s_mov_b32 s12, s2
	v_cmp_gt_u16_e64 vcc_lo, 0x90, v160
	s_wait_loadcnt 0x0
	v_mul_f64_e32 v[2:3], v[46:47], v[42:43]
	v_mul_f64_e32 v[4:5], v[44:45], v[42:43]
	s_delay_alu instid0(VALU_DEP_2) | instskip(NEXT) | instid1(VALU_DEP_2)
	v_fma_f64 v[88:89], v[44:45], v[40:41], v[2:3]
	v_fma_f64 v[90:91], v[46:47], v[40:41], -v[4:5]
	global_load_b128 v[92:95], v[0:1], off
	global_load_b128 v[44:47], v199, s[8:9] offset:33792
	s_wait_loadcnt 0x0
	v_mul_f64_e32 v[0:1], v[94:95], v[46:47]
	v_mul_f64_e32 v[2:3], v[92:93], v[46:47]
	s_delay_alu instid0(VALU_DEP_2) | instskip(NEXT) | instid1(VALU_DEP_2)
	v_fma_f64 v[92:93], v[92:93], v[44:45], v[0:1]
	v_fma_f64 v[94:95], v[94:95], v[44:45], -v[2:3]
	ds_store_b128 v199, v[56:59] offset:12288
	ds_store_b128 v199, v[52:55] offset:24576
	ds_store_b128 v199, v[48:51]
	ds_store_b128 v199, v[60:63] offset:6144
	ds_store_b128 v199, v[64:67] offset:18432
	;; [unrolled: 1-line block ×9, first 2 shown]
	s_load_b128 s[4:7], s[6:7], 0x0
	global_wb scope:SCOPE_SE
	s_wait_storecnt_dscnt 0x0
	s_wait_kmcnt 0x0
	s_barrier_signal -1
	s_barrier_wait -1
	global_inv scope:SCOPE_SE
	ds_load_b128 v[48:51], v199 offset:12288
	ds_load_b128 v[52:55], v199
	ds_load_b128 v[56:59], v199 offset:24576
	s_wait_dscnt 0x1
	v_add_f64_e32 v[0:1], v[52:53], v[48:49]
	v_add_f64_e32 v[2:3], v[54:55], v[50:51]
	s_wait_dscnt 0x0
	v_add_f64_e32 v[4:5], v[48:49], v[56:57]
	v_add_f64_e32 v[6:7], v[50:51], v[58:59]
	v_add_f64_e64 v[8:9], v[50:51], -v[58:59]
	v_add_f64_e64 v[10:11], v[48:49], -v[56:57]
	v_add_f64_e32 v[0:1], v[0:1], v[56:57]
	v_add_f64_e32 v[2:3], v[2:3], v[58:59]
	ds_load_b128 v[48:51], v199 offset:18432
	ds_load_b128 v[56:59], v199 offset:6144
	;; [unrolled: 1-line block ×3, first 2 shown]
	v_fma_f64 v[4:5], v[4:5], -0.5, v[52:53]
	v_fma_f64 v[6:7], v[6:7], -0.5, v[54:55]
	s_wait_dscnt 0x1
	v_add_f64_e32 v[12:13], v[56:57], v[48:49]
	v_add_f64_e32 v[14:15], v[58:59], v[50:51]
	s_wait_dscnt 0x0
	v_add_f64_e32 v[16:17], v[50:51], v[62:63]
	v_add_f64_e32 v[18:19], v[48:49], v[60:61]
	v_add_f64_e64 v[20:21], v[50:51], -v[62:63]
	v_add_f64_e64 v[22:23], v[48:49], -v[60:61]
	v_add_f64_e32 v[12:13], v[12:13], v[60:61]
	v_add_f64_e32 v[14:15], v[14:15], v[62:63]
	ds_load_b128 v[48:51], v199 offset:15360
	ds_load_b128 v[60:63], v199 offset:3072
	;; [unrolled: 1-line block ×3, first 2 shown]
	v_fma_f64 v[16:17], v[16:17], -0.5, v[58:59]
	v_fma_f64 v[18:19], v[18:19], -0.5, v[56:57]
	s_wait_dscnt 0x1
	v_add_f64_e32 v[68:69], v[60:61], v[48:49]
	v_add_f64_e32 v[70:71], v[62:63], v[50:51]
	s_wait_dscnt 0x0
	v_add_f64_e32 v[72:73], v[48:49], v[64:65]
	v_add_f64_e32 v[74:75], v[50:51], v[66:67]
	v_add_f64_e64 v[88:89], v[50:51], -v[66:67]
	v_add_f64_e64 v[90:91], v[48:49], -v[64:65]
	;; [unrolled: 1-line block ×4, first 2 shown]
	v_add_f64_e32 v[76:77], v[68:69], v[64:65]
	v_add_f64_e32 v[78:79], v[70:71], v[66:67]
	ds_load_b128 v[48:51], v199 offset:21504
	ds_load_b128 v[64:67], v199 offset:9216
	;; [unrolled: 1-line block ×3, first 2 shown]
	v_fma_f64 v[102:103], v[74:75], -0.5, v[62:63]
	v_fma_f64 v[100:101], v[72:73], -0.5, v[60:61]
	global_wb scope:SCOPE_SE
	s_wait_dscnt 0x0
	s_barrier_signal -1
	s_barrier_wait -1
	global_inv scope:SCOPE_SE
	v_add_f64_e32 v[80:81], v[64:65], v[48:49]
	v_add_f64_e32 v[86:87], v[48:49], v[68:69]
	v_add_f64_e64 v[94:95], v[48:49], -v[68:69]
	v_add_f64_e32 v[48:49], v[0:1], v[12:13]
	v_fma_f64 v[0:1], v[22:23], s[12:13], v[16:17]
	v_add_f64_e32 v[82:83], v[66:67], v[50:51]
	v_add_f64_e32 v[84:85], v[50:51], v[70:71]
	v_add_f64_e64 v[92:93], v[50:51], -v[70:71]
	v_add_f64_e32 v[50:51], v[2:3], v[14:15]
	v_fma_f64 v[2:3], v[20:21], s[2:3], v[18:19]
	v_fma_f64 v[14:15], v[10:11], s[12:13], v[6:7]
	;; [unrolled: 1-line block ×3, first 2 shown]
	v_add_f64_e32 v[68:69], v[80:81], v[68:69]
	v_fma_f64 v[98:99], v[86:87], -0.5, v[64:65]
	v_mul_f64_e32 v[12:13], s[2:3], v[0:1]
	v_add_f64_e32 v[70:71], v[82:83], v[70:71]
	v_fma_f64 v[96:97], v[84:85], -0.5, v[66:67]
	v_add_f64_e32 v[56:57], v[76:77], v[68:69]
	v_add_f64_e64 v[60:61], v[76:77], -v[68:69]
	v_fma_f64 v[12:13], v[2:3], 0.5, v[12:13]
	v_mul_f64_e32 v[2:3], s[12:13], v[2:3]
	v_add_f64_e32 v[58:59], v[78:79], v[70:71]
	v_add_f64_e64 v[62:63], v[78:79], -v[70:71]
	s_delay_alu instid0(VALU_DEP_3) | instskip(SKIP_2) | instid1(VALU_DEP_3)
	v_fma_f64 v[0:1], v[0:1], 0.5, v[2:3]
	v_fma_f64 v[2:3], v[8:9], s[2:3], v[4:5]
	v_fma_f64 v[4:5], v[8:9], s[12:13], v[4:5]
	v_add_f64_e32 v[66:67], v[14:15], v[0:1]
	v_add_f64_e64 v[70:71], v[14:15], -v[0:1]
	v_fma_f64 v[0:1], v[20:21], s[12:13], v[18:19]
	v_add_f64_e32 v[64:65], v[2:3], v[12:13]
	v_add_f64_e64 v[68:69], v[2:3], -v[12:13]
	v_fma_f64 v[2:3], v[22:23], s[2:3], v[16:17]
	s_delay_alu instid0(VALU_DEP_4) | instskip(NEXT) | instid1(VALU_DEP_1)
	v_mul_f64_e32 v[8:9], -0.5, v[0:1]
	v_fma_f64 v[8:9], v[2:3], s[2:3], v[8:9]
	v_mul_f64_e32 v[2:3], -0.5, v[2:3]
	s_delay_alu instid0(VALU_DEP_2) | instskip(NEXT) | instid1(VALU_DEP_2)
	v_add_f64_e32 v[72:73], v[4:5], v[8:9]
	v_fma_f64 v[0:1], v[0:1], s[12:13], v[2:3]
	v_add_f64_e64 v[76:77], v[4:5], -v[8:9]
	v_fma_f64 v[2:3], v[92:93], s[2:3], v[98:99]
	s_delay_alu instid0(VALU_DEP_3) | instskip(SKIP_3) | instid1(VALU_DEP_2)
	v_add_f64_e32 v[74:75], v[6:7], v[0:1]
	v_add_f64_e64 v[78:79], v[6:7], -v[0:1]
	v_fma_f64 v[0:1], v[94:95], s[12:13], v[96:97]
	v_fma_f64 v[6:7], v[90:91], s[12:13], v[102:103]
	v_mul_f64_e32 v[4:5], s[2:3], v[0:1]
	s_delay_alu instid0(VALU_DEP_1) | instskip(SKIP_1) | instid1(VALU_DEP_1)
	v_fma_f64 v[4:5], v[2:3], 0.5, v[4:5]
	v_mul_f64_e32 v[2:3], s[12:13], v[2:3]
	v_fma_f64 v[0:1], v[0:1], 0.5, v[2:3]
	v_fma_f64 v[2:3], v[88:89], s[2:3], v[100:101]
	s_delay_alu instid0(VALU_DEP_2) | instskip(SKIP_2) | instid1(VALU_DEP_4)
	v_add_f64_e32 v[82:83], v[6:7], v[0:1]
	v_add_f64_e64 v[86:87], v[6:7], -v[0:1]
	v_fma_f64 v[0:1], v[92:93], s[12:13], v[98:99]
	v_add_f64_e32 v[80:81], v[2:3], v[4:5]
	v_add_f64_e64 v[84:85], v[2:3], -v[4:5]
	v_fma_f64 v[2:3], v[94:95], s[2:3], v[96:97]
	v_fma_f64 v[6:7], v[90:91], s[2:3], v[102:103]
	;; [unrolled: 1-line block ×3, first 2 shown]
	v_mul_f64_e32 v[8:9], -0.5, v[0:1]
	s_delay_alu instid0(VALU_DEP_1) | instskip(SKIP_1) | instid1(VALU_DEP_2)
	v_fma_f64 v[8:9], v[2:3], s[2:3], v[8:9]
	v_mul_f64_e32 v[2:3], -0.5, v[2:3]
	v_add_f64_e32 v[88:89], v[4:5], v[8:9]
	s_delay_alu instid0(VALU_DEP_2) | instskip(SKIP_1) | instid1(VALU_DEP_2)
	v_fma_f64 v[0:1], v[0:1], s[12:13], v[2:3]
	v_add_f64_e64 v[92:93], v[4:5], -v[8:9]
	v_add_f64_e32 v[90:91], v[6:7], v[0:1]
	v_add_f64_e64 v[94:95], v[6:7], -v[0:1]
	v_mul_lo_u16 v0, v160, 6
	s_delay_alu instid0(VALU_DEP_1) | instskip(NEXT) | instid1(VALU_DEP_1)
	v_and_b32_e32 v0, 0xffff, v0
	v_lshlrev_b32_e32 v202, 4, v0
	v_mul_u32_u24_e32 v0, 6, v136
	ds_store_b128 v202, v[48:51]
	ds_store_b128 v202, v[52:55] offset:48
	ds_store_b128 v202, v[64:67] offset:16
	;; [unrolled: 1-line block ×5, first 2 shown]
	v_lshlrev_b32_e32 v201, 4, v0
	v_mul_lo_u16 v0, 0xab, v112
	ds_store_b128 v201, v[56:59]
	ds_store_b128 v201, v[80:83] offset:16
	ds_store_b128 v201, v[88:91] offset:32
	;; [unrolled: 1-line block ×5, first 2 shown]
	v_lshrrev_b16 v115, 10, v0
	global_wb scope:SCOPE_SE
	s_wait_dscnt 0x0
	s_barrier_signal -1
	s_barrier_wait -1
	global_inv scope:SCOPE_SE
	v_mul_lo_u16 v0, v115, 6
	ds_load_b128 v[48:51], v199 offset:18432
	ds_load_b128 v[118:121], v199 offset:27648
	;; [unrolled: 1-line block ×4, first 2 shown]
	v_sub_nc_u16 v0, v160, v0
	ds_load_b128 v[76:79], v199 offset:15360
	v_and_b32_e32 v114, 0xff, v0
	s_delay_alu instid0(VALU_DEP_1)
	v_mad_co_u64_u32 v[0:1], null, 0x50, v114, s[10:11]
	s_clause 0x4
	global_load_b128 v[56:59], v[0:1], off offset:32
	global_load_b128 v[88:91], v[0:1], off offset:48
	;; [unrolled: 1-line block ×3, first 2 shown]
	global_load_b128 v[52:55], v[0:1], off
	global_load_b128 v[80:83], v[0:1], off offset:16
	s_wait_loadcnt_dscnt 0x404
	v_mul_f64_e32 v[2:3], v[50:51], v[58:59]
	s_delay_alu instid0(VALU_DEP_1) | instskip(SKIP_1) | instid1(VALU_DEP_1)
	v_fma_f64 v[98:99], v[48:49], v[56:57], -v[2:3]
	v_mul_f64_e32 v[2:3], v[48:49], v[58:59]
	v_fma_f64 v[96:97], v[50:51], v[56:57], v[2:3]
	ds_load_b128 v[48:51], v199 offset:30720
	s_wait_loadcnt_dscnt 0x200
	v_mul_f64_e32 v[2:3], v[48:49], v[66:67]
	s_delay_alu instid0(VALU_DEP_1) | instskip(SKIP_1) | instid1(VALU_DEP_2)
	v_fma_f64 v[100:101], v[50:51], v[64:65], v[2:3]
	v_mul_f64_e32 v[2:3], v[50:51], v[66:67]
	v_add_f64_e64 v[139:140], v[96:97], -v[100:101]
	s_delay_alu instid0(VALU_DEP_2) | instskip(SKIP_3) | instid1(VALU_DEP_1)
	v_fma_f64 v[102:103], v[48:49], v[64:65], -v[2:3]
	v_mul_u32_u24_e32 v2, 0xaaab, v113
	ds_load_b128 v[48:51], v199 offset:21504
	v_lshrrev_b32_e32 v116, 18, v2
	v_mul_lo_u16 v2, v116, 6
	s_delay_alu instid0(VALU_DEP_1) | instskip(NEXT) | instid1(VALU_DEP_1)
	v_sub_nc_u16 v117, v136, v2
	v_mul_lo_u16 v2, 0x50, v117
	s_delay_alu instid0(VALU_DEP_1) | instskip(NEXT) | instid1(VALU_DEP_1)
	v_and_b32_e32 v2, 0xffff, v2
	v_add_co_u32 v2, s14, s10, v2
	s_wait_alu 0xf1ff
	v_add_co_ci_u32_e64 v3, null, s11, 0, s14
	s_clause 0x1
	global_load_b128 v[68:71], v[2:3], off offset:32
	global_load_b128 v[60:63], v[2:3], off offset:64
	s_wait_loadcnt_dscnt 0x100
	v_mul_f64_e32 v[4:5], v[50:51], v[70:71]
	s_delay_alu instid0(VALU_DEP_1) | instskip(SKIP_1) | instid1(VALU_DEP_1)
	v_fma_f64 v[86:87], v[48:49], v[68:69], -v[4:5]
	v_mul_f64_e32 v[4:5], v[48:49], v[70:71]
	v_fma_f64 v[84:85], v[50:51], v[68:69], v[4:5]
	ds_load_b128 v[48:51], v199 offset:33792
	s_wait_loadcnt_dscnt 0x0
	v_mul_f64_e32 v[4:5], v[48:49], v[62:63]
	s_delay_alu instid0(VALU_DEP_1) | instskip(SKIP_1) | instid1(VALU_DEP_1)
	v_fma_f64 v[92:93], v[50:51], v[60:61], v[4:5]
	v_mul_f64_e32 v[4:5], v[50:51], v[62:63]
	v_fma_f64 v[94:95], v[48:49], v[60:61], -v[4:5]
	ds_load_b128 v[48:51], v199 offset:6144
	s_wait_dscnt 0x0
	v_mul_f64_e32 v[4:5], v[50:51], v[54:55]
	s_delay_alu instid0(VALU_DEP_1) | instskip(SKIP_1) | instid1(VALU_DEP_1)
	v_fma_f64 v[104:105], v[48:49], v[52:53], -v[4:5]
	v_mul_f64_e32 v[4:5], v[48:49], v[54:55]
	v_fma_f64 v[108:109], v[50:51], v[52:53], v[4:5]
	global_load_b128 v[48:51], v[2:3], off
	s_wait_loadcnt 0x0
	v_mul_f64_e32 v[4:5], v[74:75], v[50:51]
	s_delay_alu instid0(VALU_DEP_1) | instskip(SKIP_1) | instid1(VALU_DEP_1)
	v_fma_f64 v[106:107], v[72:73], v[48:49], -v[4:5]
	v_mul_f64_e32 v[4:5], v[72:73], v[50:51]
	v_fma_f64 v[110:111], v[74:75], v[48:49], v[4:5]
	ds_load_b128 v[72:75], v199 offset:12288
	s_wait_dscnt 0x0
	v_mul_f64_e32 v[4:5], v[74:75], v[82:83]
	v_mul_f64_e32 v[6:7], v[72:73], v[82:83]
	s_delay_alu instid0(VALU_DEP_2) | instskip(NEXT) | instid1(VALU_DEP_2)
	v_fma_f64 v[4:5], v[72:73], v[80:81], -v[4:5]
	v_fma_f64 v[6:7], v[74:75], v[80:81], v[6:7]
	ds_load_b128 v[72:75], v199 offset:24576
	s_wait_dscnt 0x0
	v_mul_f64_e32 v[0:1], v[74:75], v[90:91]
	v_mul_f64_e32 v[8:9], v[72:73], v[90:91]
	s_delay_alu instid0(VALU_DEP_2) | instskip(NEXT) | instid1(VALU_DEP_2)
	v_fma_f64 v[0:1], v[72:73], v[88:89], -v[0:1]
	v_fma_f64 v[8:9], v[74:75], v[88:89], v[8:9]
	global_load_b128 v[72:75], v[2:3], off offset:16
	v_add_f64_e32 v[16:17], v[4:5], v[0:1]
	v_add_f64_e32 v[18:19], v[6:7], v[8:9]
	s_wait_loadcnt 0x0
	v_mul_f64_e32 v[10:11], v[78:79], v[74:75]
	v_mul_f64_e32 v[12:13], v[76:77], v[74:75]
	s_delay_alu instid0(VALU_DEP_2) | instskip(NEXT) | instid1(VALU_DEP_2)
	v_fma_f64 v[10:11], v[76:77], v[72:73], -v[10:11]
	v_fma_f64 v[12:13], v[78:79], v[72:73], v[12:13]
	global_load_b128 v[76:79], v[2:3], off offset:48
	s_wait_loadcnt 0x0
	v_mul_f64_e32 v[2:3], v[120:121], v[78:79]
	v_mul_f64_e32 v[14:15], v[118:119], v[78:79]
	s_delay_alu instid0(VALU_DEP_2) | instskip(NEXT) | instid1(VALU_DEP_2)
	v_fma_f64 v[2:3], v[118:119], v[76:77], -v[2:3]
	v_fma_f64 v[14:15], v[120:121], v[76:77], v[14:15]
	ds_load_b128 v[118:121], v199
	global_wb scope:SCOPE_SE
	s_wait_dscnt 0x0
	s_barrier_signal -1
	s_barrier_wait -1
	global_inv scope:SCOPE_SE
	v_fma_f64 v[16:17], v[16:17], -0.5, v[118:119]
	v_add_f64_e32 v[20:21], v[118:119], v[4:5]
	v_add_f64_e32 v[118:119], v[104:105], v[98:99]
	v_add_f64_e32 v[22:23], v[120:121], v[6:7]
	v_fma_f64 v[18:19], v[18:19], -0.5, v[120:121]
	v_add_f64_e64 v[6:7], v[6:7], -v[8:9]
	v_add_f64_e32 v[20:21], v[20:21], v[0:1]
	v_add_f64_e32 v[122:123], v[118:119], v[102:103]
	;; [unrolled: 1-line block ×4, first 2 shown]
	v_add_f64_e64 v[0:1], v[4:5], -v[0:1]
	s_delay_alu instid0(VALU_DEP_3) | instskip(SKIP_3) | instid1(VALU_DEP_4)
	v_add_f64_e32 v[124:125], v[118:119], v[100:101]
	v_add_f64_e32 v[118:119], v[20:21], v[122:123]
	v_add_f64_e64 v[122:123], v[20:21], -v[122:123]
	v_add_f64_e32 v[20:21], v[10:11], v[2:3]
	v_add_f64_e32 v[120:121], v[22:23], v[124:125]
	v_add_f64_e64 v[124:125], v[22:23], -v[124:125]
	v_add_f64_e32 v[22:23], v[12:13], v[14:15]
	s_delay_alu instid0(VALU_DEP_4) | instskip(SKIP_1) | instid1(VALU_DEP_3)
	v_fma_f64 v[20:21], v[20:21], -0.5, v[126:127]
	v_add_f64_e32 v[126:127], v[126:127], v[10:11]
	v_fma_f64 v[22:23], v[22:23], -0.5, v[128:129]
	v_add_f64_e32 v[128:129], v[128:129], v[12:13]
	s_delay_alu instid0(VALU_DEP_3) | instskip(SKIP_4) | instid1(VALU_DEP_4)
	v_add_f64_e32 v[130:131], v[126:127], v[2:3]
	v_add_f64_e32 v[126:127], v[106:107], v[86:87]
	v_add_f64_e64 v[2:3], v[10:11], -v[2:3]
	v_add_f64_e64 v[12:13], v[12:13], -v[14:15]
	v_add_f64_e32 v[132:133], v[128:129], v[14:15]
	v_add_f64_e32 v[134:135], v[126:127], v[94:95]
	;; [unrolled: 1-line block ×3, first 2 shown]
	s_delay_alu instid0(VALU_DEP_1) | instskip(NEXT) | instid1(VALU_DEP_3)
	v_add_f64_e32 v[137:138], v[126:127], v[92:93]
	v_add_f64_e32 v[126:127], v[130:131], v[134:135]
	v_add_f64_e64 v[130:131], v[130:131], -v[134:135]
	v_add_f64_e32 v[134:135], v[98:99], v[102:103]
	s_delay_alu instid0(VALU_DEP_4)
	v_add_f64_e32 v[128:129], v[132:133], v[137:138]
	v_add_f64_e64 v[132:133], v[132:133], -v[137:138]
	v_add_f64_e64 v[137:138], v[98:99], -v[102:103]
	v_add_f64_e32 v[98:99], v[96:97], v[100:101]
	v_fma_f64 v[4:5], v[134:135], -0.5, v[104:105]
	v_fma_f64 v[102:103], v[6:7], s[2:3], v[16:17]
	v_fma_f64 v[104:105], v[0:1], s[12:13], v[18:19]
	;; [unrolled: 1-line block ×6, first 2 shown]
	v_fma_f64 v[108:109], v[98:99], -0.5, v[108:109]
	v_fma_f64 v[96:97], v[139:140], s[2:3], v[4:5]
	v_fma_f64 v[4:5], v[139:140], s[12:13], v[4:5]
	s_delay_alu instid0(VALU_DEP_3) | instskip(NEXT) | instid1(VALU_DEP_2)
	v_fma_f64 v[8:9], v[137:138], s[12:13], v[108:109]
	v_mul_f64_e32 v[16:17], -0.5, v[4:5]
	s_delay_alu instid0(VALU_DEP_2) | instskip(NEXT) | instid1(VALU_DEP_1)
	v_mul_f64_e32 v[98:99], s[2:3], v[8:9]
	v_fma_f64 v[100:101], v[96:97], 0.5, v[98:99]
	v_mul_f64_e32 v[96:97], s[12:13], v[96:97]
	s_delay_alu instid0(VALU_DEP_1) | instskip(NEXT) | instid1(VALU_DEP_3)
	v_fma_f64 v[8:9], v[8:9], 0.5, v[96:97]
	v_add_f64_e32 v[96:97], v[102:103], v[100:101]
	v_add_f64_e64 v[100:101], v[102:103], -v[100:101]
	s_delay_alu instid0(VALU_DEP_3) | instskip(SKIP_2) | instid1(VALU_DEP_1)
	v_add_f64_e32 v[98:99], v[104:105], v[8:9]
	v_add_f64_e64 v[102:103], v[104:105], -v[8:9]
	v_fma_f64 v[8:9], v[137:138], s[2:3], v[108:109]
	v_fma_f64 v[16:17], v[8:9], s[2:3], v[16:17]
	v_mul_f64_e32 v[8:9], -0.5, v[8:9]
	s_delay_alu instid0(VALU_DEP_2) | instskip(NEXT) | instid1(VALU_DEP_2)
	v_add_f64_e32 v[137:138], v[6:7], v[16:17]
	v_fma_f64 v[4:5], v[4:5], s[12:13], v[8:9]
	v_add_f64_e64 v[141:142], v[6:7], -v[16:17]
	v_add_f64_e32 v[6:7], v[84:85], v[92:93]
	v_add_f64_e64 v[8:9], v[84:85], -v[92:93]
	s_delay_alu instid0(VALU_DEP_4) | instskip(SKIP_4) | instid1(VALU_DEP_3)
	v_add_f64_e32 v[139:140], v[0:1], v[4:5]
	v_add_f64_e64 v[143:144], v[0:1], -v[4:5]
	v_add_f64_e32 v[0:1], v[86:87], v[94:95]
	v_add_f64_e64 v[4:5], v[86:87], -v[94:95]
	v_fma_f64 v[6:7], v[6:7], -0.5, v[110:111]
	v_fma_f64 v[0:1], v[0:1], -0.5, v[106:107]
	s_delay_alu instid0(VALU_DEP_2) | instskip(SKIP_2) | instid1(VALU_DEP_4)
	v_fma_f64 v[10:11], v[4:5], s[12:13], v[6:7]
	v_fma_f64 v[4:5], v[4:5], s[2:3], v[6:7]
	;; [unrolled: 1-line block ×5, first 2 shown]
	v_mul_f64_e32 v[16:17], s[2:3], v[10:11]
	s_delay_alu instid0(VALU_DEP_2) | instskip(NEXT) | instid1(VALU_DEP_2)
	v_mul_f64_e32 v[8:9], -0.5, v[0:1]
	v_fma_f64 v[16:17], v[14:15], 0.5, v[16:17]
	v_mul_f64_e32 v[14:15], s[12:13], v[14:15]
	s_delay_alu instid0(VALU_DEP_3) | instskip(SKIP_1) | instid1(VALU_DEP_3)
	v_fma_f64 v[8:9], v[4:5], s[2:3], v[8:9]
	v_mul_f64_e32 v[4:5], -0.5, v[4:5]
	v_fma_f64 v[10:11], v[10:11], 0.5, v[14:15]
	v_fma_f64 v[14:15], v[12:13], s[2:3], v[20:21]
	v_and_b32_e32 v20, 0xffff, v148
	s_delay_alu instid0(VALU_DEP_1) | instskip(NEXT) | instid1(VALU_DEP_1)
	v_mul_u32_u24_e32 v149, 0xe38f, v20
	v_lshrrev_b32_e32 v206, 23, v149
	v_add_f64_e32 v[104:105], v[6:7], v[8:9]
	v_fma_f64 v[0:1], v[0:1], s[12:13], v[4:5]
	v_add_f64_e32 v[86:87], v[18:19], v[10:11]
	v_add_f64_e32 v[84:85], v[14:15], v[16:17]
	v_add_f64_e64 v[92:93], v[14:15], -v[16:17]
	v_add_f64_e64 v[94:95], v[18:19], -v[10:11]
	;; [unrolled: 1-line block ×3, first 2 shown]
	v_add_f64_e32 v[106:107], v[2:3], v[0:1]
	v_add_f64_e64 v[110:111], v[2:3], -v[0:1]
	v_and_b32_e32 v0, 0xffff, v115
	s_delay_alu instid0(VALU_DEP_1) | instskip(NEXT) | instid1(VALU_DEP_1)
	v_mul_u32_u24_e32 v0, 36, v0
	v_add_lshl_u32 v204, v0, v114, 4
	v_mad_u16 v0, v116, 36, v117
	ds_store_b128 v204, v[118:121]
	ds_store_b128 v204, v[122:125] offset:288
	ds_store_b128 v204, v[96:99] offset:96
	;; [unrolled: 1-line block ×5, first 2 shown]
	v_and_b32_e32 v0, 0xffff, v0
	v_mul_u32_u24_e32 v137, 0xe38f, v113
	s_delay_alu instid0(VALU_DEP_2)
	v_lshlrev_b32_e32 v203, 4, v0
	v_mul_lo_u16 v0, v112, 57
	ds_store_b128 v203, v[126:129]
	ds_store_b128 v203, v[84:87] offset:96
	ds_store_b128 v203, v[104:107] offset:192
	;; [unrolled: 1-line block ×5, first 2 shown]
	v_lshrrev_b16 v129, 11, v0
	global_wb scope:SCOPE_SE
	s_wait_dscnt 0x0
	s_barrier_signal -1
	s_barrier_wait -1
	global_inv scope:SCOPE_SE
	v_mul_lo_u16 v0, v129, 36
	ds_load_b128 v[92:95], v199 offset:9216
	ds_load_b128 v[104:107], v199 offset:12288
	;; [unrolled: 1-line block ×4, first 2 shown]
	v_sub_nc_u16 v0, v160, v0
	ds_load_b128 v[100:103], v199 offset:27648
	ds_load_b128 v[112:115], v199 offset:30720
	v_lshrrev_b32_e32 v130, 21, v137
	ds_load_b128 v[108:111], v199 offset:21504
	ds_load_b128 v[120:123], v199 offset:24576
	v_and_b32_e32 v128, 0xff, v0
	v_lshrrev_b32_e32 v132, 21, v149
	v_mul_lo_u16 v8, v130, 36
	v_lshrrev_b32_e32 v195, 23, v137
	v_mul_lo_u16 v149, 0x90, v206
	v_mad_co_u64_u32 v[0:1], null, v128, 48, s[10:11]
	s_delay_alu instid0(VALU_DEP_4) | instskip(SKIP_1) | instid1(VALU_DEP_4)
	v_sub_nc_u16 v131, v136, v8
	v_mul_lo_u16 v20, v132, 36
	v_sub_nc_u16 v207, v148, v149
	s_delay_alu instid0(VALU_DEP_3) | instskip(SKIP_4) | instid1(VALU_DEP_3)
	v_mul_lo_u16 v8, v131, 48
	global_load_b128 v[84:87], v[0:1], off offset:480
	v_sub_nc_u16 v133, v148, v20
	v_mul_lo_u16 v148, v207, 48
	v_and_b32_e32 v8, 0xffff, v8
	v_mul_lo_u16 v20, v133, 48
	s_delay_alu instid0(VALU_DEP_3) | instskip(NEXT) | instid1(VALU_DEP_3)
	v_and_b32_e32 v148, 0xffff, v148
	v_add_co_u32 v8, s14, s10, v8
	s_wait_alu 0xf1ff
	v_add_co_ci_u32_e64 v9, null, s11, 0, s14
	v_and_b32_e32 v20, 0xffff, v20
	s_delay_alu instid0(VALU_DEP_1) | instskip(SKIP_4) | instid1(VALU_DEP_1)
	v_add_co_u32 v20, s14, s10, v20
	s_wait_alu 0xf1ff
	v_add_co_ci_u32_e64 v21, null, s11, 0, s14
	s_wait_loadcnt_dscnt 0x7
	v_mul_f64_e32 v[2:3], v[94:95], v[86:87]
	v_fma_f64 v[124:125], v[92:93], v[84:85], -v[2:3]
	v_mul_f64_e32 v[2:3], v[92:93], v[86:87]
	s_delay_alu instid0(VALU_DEP_1) | instskip(SKIP_4) | instid1(VALU_DEP_2)
	v_fma_f64 v[126:127], v[94:95], v[84:85], v[2:3]
	global_load_b128 v[92:95], v[0:1], off offset:496
	s_wait_loadcnt_dscnt 0x5
	v_mul_f64_e32 v[2:3], v[98:99], v[94:95]
	v_mul_f64_e32 v[4:5], v[96:97], v[94:95]
	v_fma_f64 v[2:3], v[96:97], v[92:93], -v[2:3]
	s_delay_alu instid0(VALU_DEP_2) | instskip(SKIP_4) | instid1(VALU_DEP_2)
	v_fma_f64 v[4:5], v[98:99], v[92:93], v[4:5]
	global_load_b128 v[96:99], v[0:1], off offset:512
	s_wait_loadcnt_dscnt 0x3
	v_mul_f64_e32 v[0:1], v[102:103], v[98:99]
	v_mul_f64_e32 v[6:7], v[100:101], v[98:99]
	v_fma_f64 v[0:1], v[100:101], v[96:97], -v[0:1]
	s_delay_alu instid0(VALU_DEP_2)
	v_fma_f64 v[6:7], v[102:103], v[96:97], v[6:7]
	global_load_b128 v[100:103], v[8:9], off offset:480
	v_add_f64_e64 v[0:1], v[124:125], -v[0:1]
	v_add_f64_e64 v[6:7], v[126:127], -v[6:7]
	s_wait_loadcnt 0x0
	v_mul_f64_e32 v[10:11], v[106:107], v[102:103]
	v_mul_f64_e32 v[12:13], v[104:105], v[102:103]
	s_delay_alu instid0(VALU_DEP_2) | instskip(NEXT) | instid1(VALU_DEP_2)
	v_fma_f64 v[10:11], v[104:105], v[100:101], -v[10:11]
	v_fma_f64 v[12:13], v[106:107], v[100:101], v[12:13]
	global_load_b128 v[104:107], v[8:9], off offset:496
	s_wait_loadcnt_dscnt 0x1
	v_mul_f64_e32 v[14:15], v[110:111], v[106:107]
	v_mul_f64_e32 v[16:17], v[108:109], v[106:107]
	s_delay_alu instid0(VALU_DEP_2) | instskip(NEXT) | instid1(VALU_DEP_2)
	v_fma_f64 v[14:15], v[108:109], v[104:105], -v[14:15]
	v_fma_f64 v[16:17], v[110:111], v[104:105], v[16:17]
	global_load_b128 v[108:111], v[8:9], off offset:512
	s_wait_loadcnt 0x0
	v_mul_f64_e32 v[8:9], v[114:115], v[110:111]
	v_mul_f64_e32 v[18:19], v[112:113], v[110:111]
	s_delay_alu instid0(VALU_DEP_2) | instskip(NEXT) | instid1(VALU_DEP_2)
	v_fma_f64 v[8:9], v[112:113], v[108:109], -v[8:9]
	v_fma_f64 v[18:19], v[114:115], v[108:109], v[18:19]
	global_load_b128 v[112:115], v[20:21], off offset:480
	v_add_f64_e64 v[8:9], v[10:11], -v[8:9]
	s_delay_alu instid0(VALU_DEP_1) | instskip(SKIP_2) | instid1(VALU_DEP_1)
	v_fma_f64 v[10:11], v[10:11], 2.0, -v[8:9]
	s_wait_loadcnt 0x0
	v_mul_f64_e32 v[22:23], v[118:119], v[114:115]
	v_fma_f64 v[22:23], v[116:117], v[112:113], -v[22:23]
	v_mul_f64_e32 v[116:117], v[116:117], v[114:115]
	s_delay_alu instid0(VALU_DEP_1) | instskip(SKIP_3) | instid1(VALU_DEP_1)
	v_fma_f64 v[134:135], v[118:119], v[112:113], v[116:117]
	global_load_b128 v[116:119], v[20:21], off offset:496
	s_wait_loadcnt_dscnt 0x0
	v_mul_f64_e32 v[138:139], v[122:123], v[118:119]
	v_fma_f64 v[146:147], v[120:121], v[116:117], -v[138:139]
	v_mul_f64_e32 v[120:121], v[120:121], v[118:119]
	ds_load_b128 v[138:141], v199 offset:33792
	v_fma_f64 v[158:159], v[122:123], v[116:117], v[120:121]
	global_load_b128 v[120:123], v[20:21], off offset:512
	s_wait_loadcnt_dscnt 0x0
	v_mul_f64_e32 v[20:21], v[140:141], v[122:123]
	s_delay_alu instid0(VALU_DEP_1) | instskip(SKIP_1) | instid1(VALU_DEP_1)
	v_fma_f64 v[161:162], v[138:139], v[120:121], -v[20:21]
	v_mul_f64_e32 v[20:21], v[138:139], v[122:123]
	v_fma_f64 v[163:164], v[140:141], v[120:121], v[20:21]
	ds_load_b128 v[138:141], v199
	ds_load_b128 v[150:153], v199 offset:3072
	ds_load_b128 v[154:157], v199 offset:6144
	global_wb scope:SCOPE_SE
	s_wait_dscnt 0x0
	s_barrier_signal -1
	s_barrier_wait -1
	global_inv scope:SCOPE_SE
	v_add_f64_e64 v[2:3], v[138:139], -v[2:3]
	v_add_f64_e64 v[4:5], v[140:141], -v[4:5]
	s_delay_alu instid0(VALU_DEP_2) | instskip(SKIP_1) | instid1(VALU_DEP_3)
	v_fma_f64 v[20:21], v[138:139], 2.0, -v[2:3]
	v_add_f64_e64 v[138:139], v[2:3], -v[6:7]
	v_fma_f64 v[165:166], v[140:141], 2.0, -v[4:5]
	v_add_f64_e32 v[140:141], v[4:5], v[0:1]
	v_fma_f64 v[0:1], v[124:125], 2.0, -v[0:1]
	s_delay_alu instid0(VALU_DEP_4) | instskip(SKIP_1) | instid1(VALU_DEP_4)
	v_fma_f64 v[142:143], v[2:3], 2.0, -v[138:139]
	v_and_b32_e32 v2, 0xffff, v129
	v_fma_f64 v[144:145], v[4:5], 2.0, -v[140:141]
	s_delay_alu instid0(VALU_DEP_4) | instskip(SKIP_3) | instid1(VALU_DEP_1)
	v_add_f64_e64 v[124:125], v[20:21], -v[0:1]
	v_add_f64_e64 v[0:1], v[150:151], -v[14:15]
	;; [unrolled: 1-line block ×3, first 2 shown]
	v_mul_u32_u24_e32 v2, 0x90, v2
	v_add_lshl_u32 v196, v2, v128, 4
	v_fma_f64 v[2:3], v[126:127], 2.0, -v[6:7]
	ds_store_b128 v196, v[138:141] offset:1728
	v_fma_f64 v[138:139], v[20:21], 2.0, -v[124:125]
	v_fma_f64 v[4:5], v[150:151], 2.0, -v[0:1]
	;; [unrolled: 1-line block ×3, first 2 shown]
	v_add_f64_e64 v[128:129], v[0:1], -v[14:15]
	v_add_f64_e64 v[126:127], v[165:166], -v[2:3]
	;; [unrolled: 1-line block ×3, first 2 shown]
	s_delay_alu instid0(VALU_DEP_2) | instskip(NEXT) | instid1(VALU_DEP_2)
	v_fma_f64 v[140:141], v[165:166], 2.0, -v[126:127]
	v_fma_f64 v[6:7], v[152:153], 2.0, -v[2:3]
	ds_store_b128 v196, v[124:127] offset:1152
	ds_store_b128 v196, v[142:145] offset:576
	ds_store_b128 v196, v[138:141]
	v_add_f64_e64 v[124:125], v[4:5], -v[10:11]
	v_add_f64_e64 v[10:11], v[134:135], -v[163:164]
	;; [unrolled: 1-line block ×3, first 2 shown]
	s_delay_alu instid0(VALU_DEP_3) | instskip(SKIP_1) | instid1(VALU_DEP_3)
	v_fma_f64 v[138:139], v[4:5], 2.0, -v[124:125]
	v_mad_u16 v4, 0x90, v130, v131
	v_fma_f64 v[140:141], v[6:7], 2.0, -v[126:127]
	v_add_f64_e32 v[130:131], v[2:3], v[8:9]
	v_add_f64_e64 v[8:9], v[22:23], -v[161:162]
	v_fma_f64 v[14:15], v[134:135], 2.0, -v[10:11]
	v_and_b32_e32 v4, 0xffff, v4
	s_delay_alu instid0(VALU_DEP_1)
	v_lshlrev_b32_e32 v20, 4, v4
	ds_store_b128 v20, v[138:141]
	v_fma_f64 v[138:139], v[0:1], 2.0, -v[128:129]
	v_fma_f64 v[140:141], v[2:3], 2.0, -v[130:131]
	v_add_f64_e64 v[0:1], v[154:155], -v[146:147]
	v_add_f64_e64 v[2:3], v[156:157], -v[158:159]
	v_fma_f64 v[12:13], v[22:23], 2.0, -v[8:9]
	ds_store_b128 v20, v[138:141] offset:576
	ds_store_b128 v20, v[124:127] offset:1152
	;; [unrolled: 1-line block ×3, first 2 shown]
	v_fma_f64 v[4:5], v[154:155], 2.0, -v[0:1]
	v_fma_f64 v[6:7], v[156:157], 2.0, -v[2:3]
	s_delay_alu instid0(VALU_DEP_2) | instskip(NEXT) | instid1(VALU_DEP_2)
	v_add_f64_e64 v[124:125], v[4:5], -v[12:13]
	v_add_f64_e64 v[126:127], v[6:7], -v[14:15]
	v_mul_lo_u16 v12, 0x90, v195
	s_delay_alu instid0(VALU_DEP_1) | instskip(NEXT) | instid1(VALU_DEP_1)
	v_sub_nc_u16 v205, v136, v12
	v_mul_lo_u16 v12, v205, 48
	s_delay_alu instid0(VALU_DEP_1) | instskip(NEXT) | instid1(VALU_DEP_1)
	v_and_b32_e32 v12, 0xffff, v12
	v_add_co_u32 v12, s14, s10, v12
	s_wait_alu 0xf1ff
	v_add_co_ci_u32_e64 v13, null, s11, 0, s14
	v_add_co_u32 v161, s14, s10, v148
	s_wait_alu 0xf1ff
	v_add_co_ci_u32_e64 v162, null, s11, 0, s14
	v_fma_f64 v[128:129], v[4:5], 2.0, -v[124:125]
	v_fma_f64 v[130:131], v[6:7], 2.0, -v[126:127]
	v_mad_u16 v4, 0x90, v132, v133
	s_delay_alu instid0(VALU_DEP_1) | instskip(NEXT) | instid1(VALU_DEP_1)
	v_and_b32_e32 v4, 0xffff, v4
	v_lshlrev_b32_e32 v255, 4, v4
	ds_store_b128 v255, v[128:131]
	v_add_f64_e64 v[128:129], v[0:1], -v[10:11]
	v_add_f64_e32 v[130:131], v[2:3], v[8:9]
	s_delay_alu instid0(VALU_DEP_2) | instskip(NEXT) | instid1(VALU_DEP_2)
	v_fma_f64 v[132:133], v[0:1], 2.0, -v[128:129]
	v_fma_f64 v[134:135], v[2:3], 2.0, -v[130:131]
	v_add_nc_u32_e32 v0, 0xffffff70, v197
	ds_store_b128 v255, v[132:135] offset:576
	ds_store_b128 v255, v[124:127] offset:1152
	ds_store_b128 v255, v[128:131] offset:1728
	v_cndmask_b32_e32 v23, v0, v197, vcc_lo
	global_wb scope:SCOPE_SE
	s_wait_dscnt 0x0
	s_barrier_signal -1
	s_barrier_wait -1
	global_inv scope:SCOPE_SE
	v_mul_i32_i24_e32 v0, 48, v23
	v_mul_hi_i32_i24_e32 v1, 48, v23
	ds_load_b128 v[128:131], v199 offset:9216
	ds_load_b128 v[132:135], v199 offset:18432
	;; [unrolled: 1-line block ×4, first 2 shown]
	v_add_co_u32 v0, vcc_lo, s10, v0
	s_wait_alu 0xfffd
	v_add_co_ci_u32_e32 v1, vcc_lo, s11, v1, vcc_lo
	v_cmp_lt_u16_e64 vcc_lo, 0x8f, v160
	ds_load_b128 v[144:147], v199 offset:21504
	global_load_b128 v[124:127], v[0:1], off offset:2208
	s_wait_loadcnt_dscnt 0x4
	v_mul_f64_e32 v[2:3], v[130:131], v[126:127]
	v_mul_f64_e32 v[4:5], v[128:129], v[126:127]
	s_delay_alu instid0(VALU_DEP_2) | instskip(NEXT) | instid1(VALU_DEP_2)
	v_fma_f64 v[2:3], v[128:129], v[124:125], -v[2:3]
	v_fma_f64 v[4:5], v[130:131], v[124:125], v[4:5]
	global_load_b128 v[128:131], v[0:1], off offset:2224
	s_wait_loadcnt_dscnt 0x3
	v_mul_f64_e32 v[6:7], v[134:135], v[130:131]
	v_mul_f64_e32 v[8:9], v[132:133], v[130:131]
	s_delay_alu instid0(VALU_DEP_2) | instskip(NEXT) | instid1(VALU_DEP_2)
	v_fma_f64 v[6:7], v[132:133], v[128:129], -v[6:7]
	v_fma_f64 v[8:9], v[134:135], v[128:129], v[8:9]
	global_load_b128 v[132:135], v[0:1], off offset:2240
	s_wait_loadcnt_dscnt 0x2
	v_mul_f64_e32 v[0:1], v[140:141], v[134:135]
	v_mul_f64_e32 v[10:11], v[138:139], v[134:135]
	s_delay_alu instid0(VALU_DEP_2)
	v_fma_f64 v[0:1], v[138:139], v[132:133], -v[0:1]
	global_load_b128 v[136:139], v[12:13], off offset:2208
	v_fma_f64 v[10:11], v[140:141], v[132:133], v[10:11]
	ds_load_b128 v[140:143], v199 offset:12288
	v_add_f64_e64 v[0:1], v[2:3], -v[0:1]
	v_add_f64_e64 v[10:11], v[4:5], -v[10:11]
	s_wait_loadcnt_dscnt 0x0
	v_mul_f64_e32 v[14:15], v[142:143], v[138:139]
	v_mul_f64_e32 v[16:17], v[140:141], v[138:139]
	s_delay_alu instid0(VALU_DEP_2) | instskip(NEXT) | instid1(VALU_DEP_2)
	v_fma_f64 v[14:15], v[140:141], v[136:137], -v[14:15]
	v_fma_f64 v[16:17], v[142:143], v[136:137], v[16:17]
	global_load_b128 v[140:143], v[12:13], off offset:2224
	s_wait_loadcnt 0x0
	v_mul_f64_e32 v[18:19], v[146:147], v[142:143]
	v_mul_f64_e32 v[21:22], v[144:145], v[142:143]
	s_delay_alu instid0(VALU_DEP_2) | instskip(NEXT) | instid1(VALU_DEP_2)
	v_fma_f64 v[18:19], v[144:145], v[140:141], -v[18:19]
	v_fma_f64 v[21:22], v[146:147], v[140:141], v[21:22]
	global_load_b128 v[144:147], v[12:13], off offset:2240
	s_wait_loadcnt 0x0
	v_mul_f64_e32 v[12:13], v[152:153], v[146:147]
	s_delay_alu instid0(VALU_DEP_1) | instskip(SKIP_1) | instid1(VALU_DEP_1)
	v_fma_f64 v[12:13], v[150:151], v[144:145], -v[12:13]
	v_mul_f64_e32 v[150:151], v[150:151], v[146:147]
	v_fma_f64 v[181:182], v[152:153], v[144:145], v[150:151]
	global_load_b128 v[148:151], v[161:162], off offset:2208
	ds_load_b128 v[152:155], v199 offset:15360
	s_wait_loadcnt_dscnt 0x0
	v_mul_f64_e32 v[156:157], v[154:155], v[150:151]
	s_delay_alu instid0(VALU_DEP_1)
	v_fma_f64 v[183:184], v[152:153], v[148:149], -v[156:157]
	v_mul_f64_e32 v[152:153], v[152:153], v[150:151]
	ds_load_b128 v[156:159], v199 offset:24576
	v_fma_f64 v[185:186], v[154:155], v[148:149], v[152:153]
	global_load_b128 v[152:155], v[161:162], off offset:2224
	s_wait_loadcnt_dscnt 0x0
	v_mul_f64_e32 v[163:164], v[158:159], v[154:155]
	s_delay_alu instid0(VALU_DEP_1) | instskip(SKIP_1) | instid1(VALU_DEP_1)
	v_fma_f64 v[187:188], v[156:157], v[152:153], -v[163:164]
	v_mul_f64_e32 v[156:157], v[156:157], v[154:155]
	v_fma_f64 v[189:190], v[158:159], v[152:153], v[156:157]
	global_load_b128 v[156:159], v[161:162], off offset:2240
	ds_load_b128 v[161:164], v199 offset:33792
	s_wait_loadcnt_dscnt 0x0
	v_mul_f64_e32 v[165:166], v[163:164], v[158:159]
	s_delay_alu instid0(VALU_DEP_1) | instskip(SKIP_1) | instid1(VALU_DEP_1)
	v_fma_f64 v[191:192], v[161:162], v[156:157], -v[165:166]
	v_mul_f64_e32 v[161:162], v[161:162], v[158:159]
	v_fma_f64 v[193:194], v[163:164], v[156:157], v[161:162]
	ds_load_b128 v[161:164], v199
	ds_load_b128 v[169:172], v199 offset:3072
	ds_load_b128 v[173:176], v199 offset:6144
	global_wb scope:SCOPE_SE
	s_wait_dscnt 0x0
	s_barrier_signal -1
	s_barrier_wait -1
	global_inv scope:SCOPE_SE
	v_add_f64_e64 v[6:7], v[161:162], -v[6:7]
	v_add_f64_e64 v[8:9], v[163:164], -v[8:9]
	s_delay_alu instid0(VALU_DEP_2) | instskip(SKIP_1) | instid1(VALU_DEP_3)
	v_fma_f64 v[177:178], v[161:162], 2.0, -v[6:7]
	v_add_f64_e64 v[161:162], v[6:7], -v[10:11]
	v_fma_f64 v[179:180], v[163:164], 2.0, -v[8:9]
	v_add_f64_e32 v[163:164], v[8:9], v[0:1]
	v_fma_f64 v[0:1], v[2:3], 2.0, -v[0:1]
	v_fma_f64 v[2:3], v[4:5], 2.0, -v[10:11]
	v_add_f64_e64 v[10:11], v[16:17], -v[181:182]
	v_fma_f64 v[165:166], v[6:7], 2.0, -v[161:162]
	s_wait_alu 0xfffd
	v_cndmask_b32_e64 v6, 0, 0x240, vcc_lo
	v_fma_f64 v[167:168], v[8:9], 2.0, -v[163:164]
	v_add_f64_e64 v[8:9], v[14:15], -v[12:13]
	s_delay_alu instid0(VALU_DEP_3)
	v_add_lshl_u32 v210, v23, v6, 4
	ds_store_b128 v210, v[161:164] offset:6912
	v_add_f64_e64 v[160:161], v[177:178], -v[0:1]
	v_add_f64_e64 v[162:163], v[179:180], -v[2:3]
	;; [unrolled: 1-line block ×4, first 2 shown]
	v_fma_f64 v[12:13], v[14:15], 2.0, -v[8:9]
	v_fma_f64 v[14:15], v[16:17], 2.0, -v[10:11]
	;; [unrolled: 1-line block ×6, first 2 shown]
	ds_store_b128 v210, v[160:163] offset:4608
	ds_store_b128 v210, v[165:168] offset:2304
	ds_store_b128 v210, v[177:180]
	v_add_f64_e64 v[160:161], v[4:5], -v[12:13]
	v_add_f64_e64 v[162:163], v[6:7], -v[14:15]
	s_delay_alu instid0(VALU_DEP_2) | instskip(NEXT) | instid1(VALU_DEP_2)
	v_fma_f64 v[164:165], v[4:5], 2.0, -v[160:161]
	v_fma_f64 v[166:167], v[6:7], 2.0, -v[162:163]
	v_mad_u16 v4, 0x240, v195, v205
	s_delay_alu instid0(VALU_DEP_1) | instskip(NEXT) | instid1(VALU_DEP_1)
	v_and_b32_e32 v4, 0xffff, v4
	v_lshlrev_b32_e32 v209, 4, v4
	ds_store_b128 v209, v[164:167]
	v_add_f64_e64 v[164:165], v[0:1], -v[10:11]
	v_add_f64_e32 v[166:167], v[2:3], v[8:9]
	v_add_f64_e64 v[8:9], v[183:184], -v[191:192]
	v_add_f64_e64 v[10:11], v[185:186], -v[193:194]
	s_delay_alu instid0(VALU_DEP_4) | instskip(NEXT) | instid1(VALU_DEP_4)
	v_fma_f64 v[168:169], v[0:1], 2.0, -v[164:165]
	v_fma_f64 v[170:171], v[2:3], 2.0, -v[166:167]
	v_add_f64_e64 v[0:1], v[173:174], -v[187:188]
	v_add_f64_e64 v[2:3], v[175:176], -v[189:190]
	v_fma_f64 v[12:13], v[183:184], 2.0, -v[8:9]
	v_fma_f64 v[14:15], v[185:186], 2.0, -v[10:11]
	ds_store_b128 v209, v[168:171] offset:2304
	ds_store_b128 v209, v[160:163] offset:4608
	;; [unrolled: 1-line block ×3, first 2 shown]
	v_fma_f64 v[4:5], v[173:174], 2.0, -v[0:1]
	v_fma_f64 v[6:7], v[175:176], 2.0, -v[2:3]
	s_delay_alu instid0(VALU_DEP_2) | instskip(NEXT) | instid1(VALU_DEP_2)
	v_add_f64_e64 v[160:161], v[4:5], -v[12:13]
	v_add_f64_e64 v[162:163], v[6:7], -v[14:15]
	s_delay_alu instid0(VALU_DEP_2) | instskip(NEXT) | instid1(VALU_DEP_2)
	v_fma_f64 v[164:165], v[4:5], 2.0, -v[160:161]
	v_fma_f64 v[166:167], v[6:7], 2.0, -v[162:163]
	v_mad_u16 v4, 0x240, v206, v207
	s_delay_alu instid0(VALU_DEP_1) | instskip(NEXT) | instid1(VALU_DEP_1)
	v_and_b32_e32 v4, 0xffff, v4
	v_lshlrev_b32_e32 v21, 4, v4
	ds_store_b128 v21, v[164:167]
	v_add_f64_e64 v[164:165], v[0:1], -v[10:11]
	v_add_f64_e32 v[166:167], v[2:3], v[8:9]
	s_delay_alu instid0(VALU_DEP_2) | instskip(NEXT) | instid1(VALU_DEP_2)
	v_fma_f64 v[168:169], v[0:1], 2.0, -v[164:165]
	v_fma_f64 v[170:171], v[2:3], 2.0, -v[166:167]
	v_mad_co_u64_u32 v[0:1], null, v197, 48, s[10:11]
	ds_store_b128 v21, v[168:171] offset:2304
	ds_store_b128 v21, v[160:163] offset:4608
	;; [unrolled: 1-line block ×3, first 2 shown]
	global_wb scope:SCOPE_SE
	s_wait_dscnt 0x0
	s_barrier_signal -1
	s_barrier_wait -1
	global_inv scope:SCOPE_SE
	s_clause 0x1
	global_load_b128 v[160:163], v[0:1], off offset:9120
	global_load_b128 v[168:171], v[0:1], off offset:9136
	ds_load_b128 v[164:167], v199 offset:9216
	ds_load_b128 v[176:179], v199 offset:12288
	;; [unrolled: 1-line block ×5, first 2 shown]
	s_wait_loadcnt_dscnt 0x104
	v_mul_f64_e32 v[2:3], v[166:167], v[162:163]
	v_mul_f64_e32 v[4:5], v[164:165], v[162:163]
	s_delay_alu instid0(VALU_DEP_2) | instskip(NEXT) | instid1(VALU_DEP_2)
	v_fma_f64 v[2:3], v[164:165], v[160:161], -v[2:3]
	v_fma_f64 v[4:5], v[166:167], v[160:161], v[4:5]
	ds_load_b128 v[164:167], v199 offset:18432
	s_wait_loadcnt_dscnt 0x0
	v_mul_f64_e32 v[6:7], v[166:167], v[170:171]
	v_mul_f64_e32 v[8:9], v[164:165], v[170:171]
	s_delay_alu instid0(VALU_DEP_2) | instskip(NEXT) | instid1(VALU_DEP_2)
	v_fma_f64 v[6:7], v[164:165], v[168:169], -v[6:7]
	v_fma_f64 v[8:9], v[166:167], v[168:169], v[8:9]
	global_load_b128 v[164:167], v[0:1], off offset:9152
	s_wait_loadcnt 0x0
	v_mul_f64_e32 v[10:11], v[174:175], v[166:167]
	v_mul_f64_e32 v[12:13], v[172:173], v[166:167]
	s_delay_alu instid0(VALU_DEP_2) | instskip(NEXT) | instid1(VALU_DEP_2)
	v_fma_f64 v[10:11], v[172:173], v[164:165], -v[10:11]
	v_fma_f64 v[12:13], v[174:175], v[164:165], v[12:13]
	global_load_b128 v[172:175], v[0:1], off offset:18336
	v_add_f64_e64 v[10:11], v[2:3], -v[10:11]
	v_add_f64_e64 v[12:13], v[4:5], -v[12:13]
	s_delay_alu instid0(VALU_DEP_2) | instskip(NEXT) | instid1(VALU_DEP_2)
	v_fma_f64 v[2:3], v[2:3], 2.0, -v[10:11]
	v_fma_f64 v[4:5], v[4:5], 2.0, -v[12:13]
	s_wait_loadcnt 0x0
	v_mul_f64_e32 v[14:15], v[178:179], v[174:175]
	v_mul_f64_e32 v[16:17], v[176:177], v[174:175]
	s_delay_alu instid0(VALU_DEP_2) | instskip(NEXT) | instid1(VALU_DEP_2)
	v_fma_f64 v[14:15], v[176:177], v[172:173], -v[14:15]
	v_fma_f64 v[16:17], v[178:179], v[172:173], v[16:17]
	global_load_b128 v[176:179], v[0:1], off offset:18352
	s_wait_loadcnt 0x0
	v_mul_f64_e32 v[18:19], v[182:183], v[178:179]
	v_mul_f64_e32 v[22:23], v[180:181], v[178:179]
	s_delay_alu instid0(VALU_DEP_2) | instskip(NEXT) | instid1(VALU_DEP_2)
	v_fma_f64 v[18:19], v[180:181], v[176:177], -v[18:19]
	v_fma_f64 v[22:23], v[182:183], v[176:177], v[22:23]
	global_load_b128 v[180:183], v[0:1], off offset:18368
	s_wait_loadcnt 0x0
	v_mul_f64_e32 v[188:189], v[186:187], v[182:183]
	s_delay_alu instid0(VALU_DEP_1)
	v_fma_f64 v[205:206], v[184:185], v[180:181], -v[188:189]
	v_mul_f64_e32 v[184:185], v[184:185], v[182:183]
	ds_load_b128 v[188:191], v199 offset:15360
	v_add_f64_e64 v[205:206], v[14:15], -v[205:206]
	v_fma_f64 v[207:208], v[186:187], v[180:181], v[184:185]
	global_load_b128 v[184:187], v[0:1], off offset:27552
	v_add_f64_e64 v[207:208], v[16:17], -v[207:208]
	s_wait_loadcnt_dscnt 0x0
	v_mul_f64_e32 v[192:193], v[190:191], v[186:187]
	s_delay_alu instid0(VALU_DEP_1)
	v_fma_f64 v[227:228], v[188:189], v[184:185], -v[192:193]
	v_mul_f64_e32 v[188:189], v[188:189], v[186:187]
	ds_load_b128 v[192:195], v199 offset:24576
	v_fma_f64 v[229:230], v[190:191], v[184:185], v[188:189]
	global_load_b128 v[188:191], v[0:1], off offset:27568
	s_wait_loadcnt_dscnt 0x0
	v_mul_f64_e32 v[211:212], v[194:195], v[190:191]
	s_delay_alu instid0(VALU_DEP_1)
	v_fma_f64 v[223:224], v[192:193], v[188:189], -v[211:212]
	v_mul_f64_e32 v[192:193], v[192:193], v[190:191]
	ds_load_b128 v[211:214], v199 offset:33792
	v_fma_f64 v[225:226], v[194:195], v[188:189], v[192:193]
	global_load_b128 v[192:195], v[0:1], off offset:27584
	s_wait_loadcnt_dscnt 0x0
	v_mul_f64_e32 v[0:1], v[213:214], v[194:195]
	s_delay_alu instid0(VALU_DEP_1) | instskip(SKIP_1) | instid1(VALU_DEP_2)
	v_fma_f64 v[0:1], v[211:212], v[192:193], -v[0:1]
	v_mul_f64_e32 v[211:212], v[211:212], v[194:195]
	v_add_f64_e64 v[0:1], v[227:228], -v[0:1]
	s_delay_alu instid0(VALU_DEP_2)
	v_fma_f64 v[231:232], v[213:214], v[192:193], v[211:212]
	ds_load_b128 v[211:214], v199
	s_wait_dscnt 0x0
	v_add_f64_e64 v[6:7], v[211:212], -v[6:7]
	v_add_f64_e64 v[8:9], v[213:214], -v[8:9]
	;; [unrolled: 1-line block ×3, first 2 shown]
	s_delay_alu instid0(VALU_DEP_3) | instskip(NEXT) | instid1(VALU_DEP_3)
	v_fma_f64 v[233:234], v[211:212], 2.0, -v[6:7]
	v_fma_f64 v[235:236], v[213:214], 2.0, -v[8:9]
	v_add_f64_e64 v[211:212], v[6:7], -v[12:13]
	v_add_f64_e32 v[213:214], v[8:9], v[10:11]
	s_delay_alu instid0(VALU_DEP_2) | instskip(NEXT) | instid1(VALU_DEP_2)
	v_fma_f64 v[215:216], v[6:7], 2.0, -v[211:212]
	v_fma_f64 v[217:218], v[8:9], 2.0, -v[213:214]
	ds_store_b128 v199, v[211:214] offset:27648
	ds_load_b128 v[211:214], v199 offset:3072
	s_wait_dscnt 0x0
	v_add_f64_e64 v[6:7], v[211:212], -v[18:19]
	v_add_f64_e64 v[8:9], v[213:214], -v[22:23]
	s_delay_alu instid0(VALU_DEP_2) | instskip(NEXT) | instid1(VALU_DEP_2)
	v_fma_f64 v[18:19], v[211:212], 2.0, -v[6:7]
	v_fma_f64 v[22:23], v[213:214], 2.0, -v[8:9]
	v_add_f64_e64 v[211:212], v[6:7], -v[207:208]
	v_add_f64_e32 v[213:214], v[8:9], v[205:206]
	s_delay_alu instid0(VALU_DEP_2) | instskip(NEXT) | instid1(VALU_DEP_2)
	v_fma_f64 v[219:220], v[6:7], 2.0, -v[211:212]
	v_fma_f64 v[221:222], v[8:9], 2.0, -v[213:214]
	ds_store_b128 v199, v[211:214] offset:30720
	ds_load_b128 v[211:214], v199 offset:6144
	s_wait_dscnt 0x0
	v_add_f64_e64 v[6:7], v[211:212], -v[223:224]
	v_add_f64_e64 v[8:9], v[213:214], -v[225:226]
	s_delay_alu instid0(VALU_DEP_2) | instskip(NEXT) | instid1(VALU_DEP_2)
	v_fma_f64 v[237:238], v[211:212], 2.0, -v[6:7]
	v_fma_f64 v[239:240], v[213:214], 2.0, -v[8:9]
	v_add_f64_e64 v[211:212], v[6:7], -v[231:232]
	v_add_f64_e32 v[213:214], v[8:9], v[0:1]
	ds_store_b128 v199, v[211:214] offset:33792
	ds_store_b128 v199, v[215:218] offset:9216
	;; [unrolled: 1-line block ×3, first 2 shown]
	v_fma_f64 v[223:224], v[6:7], 2.0, -v[211:212]
	v_fma_f64 v[225:226], v[8:9], 2.0, -v[213:214]
	v_add_f64_e64 v[211:212], v[233:234], -v[2:3]
	v_add_f64_e64 v[213:214], v[235:236], -v[4:5]
	v_fma_f64 v[2:3], v[14:15], 2.0, -v[205:206]
	v_fma_f64 v[4:5], v[16:17], 2.0, -v[207:208]
	ds_store_b128 v199, v[211:214] offset:18432
	ds_store_b128 v199, v[223:226] offset:15360
	v_fma_f64 v[215:216], v[233:234], 2.0, -v[211:212]
	v_fma_f64 v[217:218], v[235:236], 2.0, -v[213:214]
	v_add_f64_e64 v[211:212], v[18:19], -v[2:3]
	v_add_f64_e64 v[213:214], v[22:23], -v[4:5]
	v_fma_f64 v[0:1], v[227:228], 2.0, -v[0:1]
	v_fma_f64 v[2:3], v[229:230], 2.0, -v[231:232]
	s_delay_alu instid0(VALU_DEP_4) | instskip(NEXT) | instid1(VALU_DEP_4)
	v_fma_f64 v[219:220], v[18:19], 2.0, -v[211:212]
	v_fma_f64 v[221:222], v[22:23], 2.0, -v[213:214]
	ds_store_b128 v199, v[211:214] offset:21504
	v_add_f64_e64 v[211:212], v[237:238], -v[0:1]
	v_add_f64_e64 v[213:214], v[239:240], -v[2:3]
	s_delay_alu instid0(VALU_DEP_2) | instskip(NEXT) | instid1(VALU_DEP_2)
	v_fma_f64 v[223:224], v[237:238], 2.0, -v[211:212]
	v_fma_f64 v[225:226], v[239:240], 2.0, -v[213:214]
	ds_store_b128 v199, v[211:214] offset:24576
	ds_store_b128 v199, v[219:222] offset:3072
	ds_store_b128 v199, v[223:226] offset:6144
	ds_store_b128 v199, v[215:218]
	global_wb scope:SCOPE_SE
	s_wait_dscnt 0x0
	s_barrier_signal -1
	s_barrier_wait -1
	global_inv scope:SCOPE_SE
	global_load_b128 v[211:214], v199, s[8:9] offset:36864
	ds_load_b128 v[215:218], v199
	ds_load_b128 v[251:254], v199 offset:3072
	s_add_nc_u64 s[8:9], s[8:9], 0x9000
	ds_load_b128 v[221:224], v199 offset:6144
	ds_load_b128 v[205:208], v199 offset:9216
	;; [unrolled: 1-line block ×6, first 2 shown]
	s_wait_loadcnt_dscnt 0x7
	v_mul_f64_e32 v[0:1], v[217:218], v[213:214]
	v_mul_f64_e32 v[2:3], v[215:216], v[213:214]
	s_delay_alu instid0(VALU_DEP_2) | instskip(NEXT) | instid1(VALU_DEP_2)
	v_fma_f64 v[213:214], v[215:216], v[211:212], -v[0:1]
	v_fma_f64 v[215:216], v[217:218], v[211:212], v[2:3]
	global_load_b128 v[217:220], v199, s[8:9] offset:6144
	s_wait_loadcnt_dscnt 0x5
	v_mul_f64_e32 v[0:1], v[223:224], v[219:220]
	v_mul_f64_e32 v[2:3], v[221:222], v[219:220]
	s_delay_alu instid0(VALU_DEP_2) | instskip(NEXT) | instid1(VALU_DEP_2)
	v_fma_f64 v[219:220], v[221:222], v[217:218], -v[0:1]
	v_fma_f64 v[221:222], v[223:224], v[217:218], v[2:3]
	global_load_b128 v[223:226], v199, s[8:9] offset:12288
	;; [unrolled: 7-line block ×6, first 2 shown]
	s_wait_loadcnt 0x0
	v_mul_f64_e32 v[0:1], v[253:254], v[249:250]
	v_mul_f64_e32 v[2:3], v[251:252], v[249:250]
	s_delay_alu instid0(VALU_DEP_2) | instskip(NEXT) | instid1(VALU_DEP_2)
	v_fma_f64 v[249:250], v[251:252], v[247:248], -v[0:1]
	v_fma_f64 v[251:252], v[253:254], v[247:248], v[2:3]
	global_load_b128 v[0:3], v199, s[8:9] offset:9216
	s_wait_loadcnt 0x0
	v_mul_f64_e32 v[4:5], v[207:208], v[2:3]
	v_mul_f64_e32 v[2:3], v[205:206], v[2:3]
	s_delay_alu instid0(VALU_DEP_2) | instskip(NEXT) | instid1(VALU_DEP_2)
	v_fma_f64 v[205:206], v[205:206], v[0:1], -v[4:5]
	v_fma_f64 v[207:208], v[207:208], v[0:1], v[2:3]
	global_load_b128 v[0:3], v199, s[8:9] offset:15360
	ds_load_b128 v[4:7], v199 offset:15360
	s_wait_loadcnt_dscnt 0x0
	v_mul_f64_e32 v[8:9], v[6:7], v[2:3]
	v_mul_f64_e32 v[2:3], v[4:5], v[2:3]
	s_delay_alu instid0(VALU_DEP_2) | instskip(NEXT) | instid1(VALU_DEP_2)
	v_fma_f64 v[12:13], v[4:5], v[0:1], -v[8:9]
	v_fma_f64 v[14:15], v[6:7], v[0:1], v[2:3]
	global_load_b128 v[6:9], v199, s[8:9] offset:21504
	ds_load_b128 v[0:3], v199 offset:21504
	s_wait_loadcnt_dscnt 0x0
	;; [unrolled: 8-line block ×4, first 2 shown]
	v_mul_f64_e32 v[22:23], v[18:19], v[6:7]
	v_mul_f64_e32 v[6:7], v[16:17], v[6:7]
	s_delay_alu instid0(VALU_DEP_2) | instskip(NEXT) | instid1(VALU_DEP_2)
	v_fma_f64 v[16:17], v[16:17], v[4:5], -v[22:23]
	v_fma_f64 v[18:19], v[18:19], v[4:5], v[6:7]
	ds_store_b128 v199, v[219:222] offset:6144
	ds_store_b128 v199, v[249:252] offset:3072
	ds_store_b128 v199, v[225:228] offset:12288
	ds_store_b128 v199, v[205:208] offset:9216
	ds_store_b128 v199, v[231:234] offset:18432
	ds_store_b128 v199, v[12:15] offset:15360
	ds_store_b128 v199, v[237:240] offset:24576
	ds_store_b128 v199, v[8:11] offset:21504
	ds_store_b128 v199, v[243:246] offset:30720
	ds_store_b128 v199, v[0:3] offset:27648
	ds_store_b128 v199, v[213:216]
	ds_store_b128 v199, v[16:19] offset:33792
	global_wb scope:SCOPE_SE
	s_wait_dscnt 0x0
	s_barrier_signal -1
	s_barrier_wait -1
	global_inv scope:SCOPE_SE
	ds_load_b128 v[0:3], v199
	ds_load_b128 v[4:7], v199 offset:12288
	ds_load_b128 v[8:11], v199 offset:24576
	s_wait_dscnt 0x1
	v_add_f64_e32 v[12:13], v[0:1], v[4:5]
	v_add_f64_e32 v[14:15], v[2:3], v[6:7]
	s_wait_dscnt 0x0
	v_add_f64_e32 v[16:17], v[4:5], v[8:9]
	v_add_f64_e64 v[18:19], v[6:7], -v[10:11]
	v_add_f64_e32 v[22:23], v[6:7], v[10:11]
	v_add_f64_e64 v[205:206], v[4:5], -v[8:9]
	v_add_f64_e32 v[207:208], v[12:13], v[8:9]
	v_add_f64_e32 v[211:212], v[14:15], v[10:11]
	ds_load_b128 v[4:7], v199 offset:18432
	ds_load_b128 v[8:11], v199 offset:6144
	;; [unrolled: 1-line block ×3, first 2 shown]
	v_fma_f64 v[16:17], v[16:17], -0.5, v[0:1]
	v_fma_f64 v[22:23], v[22:23], -0.5, v[2:3]
	s_wait_dscnt 0x1
	v_add_f64_e32 v[213:214], v[8:9], v[4:5]
	s_wait_dscnt 0x0
	v_add_f64_e32 v[217:218], v[6:7], v[14:15]
	v_add_f64_e32 v[215:216], v[10:11], v[6:7]
	;; [unrolled: 1-line block ×3, first 2 shown]
	v_add_f64_e64 v[223:224], v[4:5], -v[12:13]
	v_add_f64_e64 v[221:222], v[6:7], -v[14:15]
	v_add_f64_e32 v[4:5], v[213:214], v[12:13]
	v_fma_f64 v[213:214], v[217:218], -0.5, v[10:11]
	v_add_f64_e32 v[6:7], v[215:216], v[14:15]
	v_fma_f64 v[215:216], v[219:220], -0.5, v[8:9]
	s_delay_alu instid0(VALU_DEP_4) | instskip(NEXT) | instid1(VALU_DEP_4)
	v_add_f64_e32 v[0:1], v[207:208], v[4:5]
	v_fma_f64 v[8:9], v[223:224], s[2:3], v[213:214]
	s_delay_alu instid0(VALU_DEP_4) | instskip(NEXT) | instid1(VALU_DEP_4)
	v_add_f64_e32 v[2:3], v[211:212], v[6:7]
	v_fma_f64 v[12:13], v[221:222], s[12:13], v[215:216]
	v_add_f64_e64 v[4:5], v[207:208], -v[4:5]
	v_add_f64_e64 v[6:7], v[211:212], -v[6:7]
	v_fma_f64 v[211:212], v[205:206], s[2:3], v[22:23]
	v_fma_f64 v[22:23], v[205:206], s[12:13], v[22:23]
	v_mul_f64_e32 v[10:11], s[12:13], v[8:9]
	v_mul_f64_e32 v[8:9], 0.5, v[8:9]
	s_delay_alu instid0(VALU_DEP_2) | instskip(NEXT) | instid1(VALU_DEP_2)
	v_fma_f64 v[14:15], v[12:13], 0.5, v[10:11]
	v_fma_f64 v[207:208], v[12:13], s[2:3], v[8:9]
	v_fma_f64 v[12:13], v[18:19], s[12:13], v[16:17]
	s_delay_alu instid0(VALU_DEP_2) | instskip(NEXT) | instid1(VALU_DEP_2)
	v_add_f64_e32 v[10:11], v[211:212], v[207:208]
	v_add_f64_e32 v[8:9], v[12:13], v[14:15]
	v_add_f64_e64 v[12:13], v[12:13], -v[14:15]
	v_add_f64_e64 v[14:15], v[211:212], -v[207:208]
	v_fma_f64 v[207:208], v[223:224], s[12:13], v[213:214]
	v_fma_f64 v[211:212], v[18:19], s[2:3], v[16:17]
	;; [unrolled: 1-line block ×3, first 2 shown]
	s_delay_alu instid0(VALU_DEP_3) | instskip(SKIP_1) | instid1(VALU_DEP_2)
	v_mul_f64_e32 v[18:19], s[12:13], v[207:208]
	v_mul_f64_e32 v[205:206], -0.5, v[207:208]
	v_fma_f64 v[207:208], v[16:17], -0.5, v[18:19]
	s_delay_alu instid0(VALU_DEP_2) | instskip(NEXT) | instid1(VALU_DEP_2)
	v_fma_f64 v[213:214], v[16:17], s[2:3], v[205:206]
	v_add_f64_e32 v[16:17], v[211:212], v[207:208]
	s_delay_alu instid0(VALU_DEP_2)
	v_add_f64_e32 v[18:19], v[22:23], v[213:214]
	v_add_f64_e64 v[205:206], v[211:212], -v[207:208]
	v_add_f64_e64 v[207:208], v[22:23], -v[213:214]
	ds_load_b128 v[211:214], v199 offset:3072
	ds_load_b128 v[215:218], v199 offset:15360
	;; [unrolled: 1-line block ×6, first 2 shown]
	global_wb scope:SCOPE_SE
	s_wait_dscnt 0x0
	s_barrier_signal -1
	s_barrier_wait -1
	global_inv scope:SCOPE_SE
	ds_store_b128 v202, v[0:3]
	ds_store_b128 v202, v[4:7] offset:48
	ds_store_b128 v202, v[8:11] offset:16
	;; [unrolled: 1-line block ×5, first 2 shown]
	v_add_f64_e32 v[0:1], v[211:212], v[215:216]
	v_add_f64_e32 v[2:3], v[213:214], v[217:218]
	;; [unrolled: 1-line block ×4, first 2 shown]
	v_add_f64_e64 v[16:17], v[217:218], -v[233:234]
	v_add_f64_e32 v[6:7], v[217:218], v[233:234]
	v_add_f64_e32 v[14:15], v[227:228], v[223:224]
	v_add_f64_e64 v[205:206], v[227:228], -v[223:224]
	v_add_f64_e64 v[18:19], v[215:216], -v[231:232]
	;; [unrolled: 1-line block ×3, first 2 shown]
	v_add_f64_e32 v[8:9], v[0:1], v[231:232]
	v_add_f64_e32 v[0:1], v[219:220], v[227:228]
	v_add_f64_e32 v[10:11], v[2:3], v[233:234]
	v_add_f64_e32 v[2:3], v[221:222], v[229:230]
	v_fma_f64 v[217:218], v[12:13], -0.5, v[221:222]
	v_fma_f64 v[211:212], v[4:5], -0.5, v[211:212]
	;; [unrolled: 1-line block ×4, first 2 shown]
	v_add_f64_e32 v[207:208], v[0:1], v[223:224]
	v_add_f64_e32 v[215:216], v[2:3], v[225:226]
	s_delay_alu instid0(VALU_DEP_4) | instskip(NEXT) | instid1(VALU_DEP_3)
	v_fma_f64 v[12:13], v[22:23], s[12:13], v[219:220]
	v_add_f64_e32 v[0:1], v[8:9], v[207:208]
	v_add_f64_e64 v[4:5], v[8:9], -v[207:208]
	v_fma_f64 v[8:9], v[205:206], s[2:3], v[217:218]
	v_add_f64_e32 v[2:3], v[10:11], v[215:216]
	v_add_f64_e64 v[6:7], v[10:11], -v[215:216]
	v_fma_f64 v[215:216], v[18:19], s[2:3], v[213:214]
	v_fma_f64 v[205:206], v[205:206], s[12:13], v[217:218]
	v_mul_f64_e32 v[10:11], s[12:13], v[8:9]
	v_mul_f64_e32 v[8:9], 0.5, v[8:9]
	s_delay_alu instid0(VALU_DEP_2) | instskip(NEXT) | instid1(VALU_DEP_2)
	v_fma_f64 v[14:15], v[12:13], 0.5, v[10:11]
	v_fma_f64 v[207:208], v[12:13], s[2:3], v[8:9]
	v_fma_f64 v[12:13], v[16:17], s[12:13], v[211:212]
	s_delay_alu instid0(VALU_DEP_2) | instskip(NEXT) | instid1(VALU_DEP_2)
	v_add_f64_e32 v[10:11], v[215:216], v[207:208]
	v_add_f64_e32 v[8:9], v[12:13], v[14:15]
	v_add_f64_e64 v[12:13], v[12:13], -v[14:15]
	v_add_f64_e64 v[14:15], v[215:216], -v[207:208]
	v_fma_f64 v[207:208], v[16:17], s[2:3], v[211:212]
	v_fma_f64 v[211:212], v[18:19], s[12:13], v[213:214]
	;; [unrolled: 1-line block ×3, first 2 shown]
	v_mul_f64_e32 v[18:19], s[12:13], v[205:206]
	v_mul_f64_e32 v[22:23], -0.5, v[205:206]
	s_delay_alu instid0(VALU_DEP_2) | instskip(NEXT) | instid1(VALU_DEP_2)
	v_fma_f64 v[205:206], v[16:17], -0.5, v[18:19]
	v_fma_f64 v[22:23], v[16:17], s[2:3], v[22:23]
	s_delay_alu instid0(VALU_DEP_2) | instskip(NEXT) | instid1(VALU_DEP_2)
	v_add_f64_e32 v[16:17], v[207:208], v[205:206]
	v_add_f64_e32 v[18:19], v[211:212], v[22:23]
	v_add_f64_e64 v[205:206], v[207:208], -v[205:206]
	v_add_f64_e64 v[207:208], v[211:212], -v[22:23]
	ds_store_b128 v201, v[0:3]
	ds_store_b128 v201, v[8:11] offset:16
	ds_store_b128 v201, v[16:19] offset:32
	;; [unrolled: 1-line block ×5, first 2 shown]
	global_wb scope:SCOPE_SE
	s_wait_dscnt 0x0
	s_barrier_signal -1
	s_barrier_wait -1
	global_inv scope:SCOPE_SE
	ds_load_b128 v[0:3], v199 offset:12288
	s_wait_dscnt 0x0
	v_mul_f64_e32 v[4:5], v[82:83], v[2:3]
	s_delay_alu instid0(VALU_DEP_1) | instskip(SKIP_1) | instid1(VALU_DEP_1)
	v_fma_f64 v[8:9], v[80:81], v[0:1], v[4:5]
	v_mul_f64_e32 v[0:1], v[82:83], v[0:1]
	v_fma_f64 v[10:11], v[80:81], v[2:3], -v[0:1]
	ds_load_b128 v[0:3], v199 offset:18432
	s_wait_dscnt 0x0
	v_mul_f64_e32 v[4:5], v[58:59], v[2:3]
	s_delay_alu instid0(VALU_DEP_1) | instskip(SKIP_1) | instid1(VALU_DEP_1)
	v_fma_f64 v[12:13], v[56:57], v[0:1], v[4:5]
	v_mul_f64_e32 v[0:1], v[58:59], v[0:1]
	v_fma_f64 v[14:15], v[56:57], v[2:3], -v[0:1]
	;; [unrolled: 7-line block ×4, first 2 shown]
	ds_load_b128 v[0:3], v199 offset:21504
	s_wait_dscnt 0x0
	v_mul_f64_e32 v[4:5], v[70:71], v[0:1]
	s_delay_alu instid0(VALU_DEP_1) | instskip(SKIP_1) | instid1(VALU_DEP_1)
	v_fma_f64 v[58:59], v[68:69], v[2:3], -v[4:5]
	v_mul_f64_e32 v[2:3], v[70:71], v[2:3]
	v_fma_f64 v[64:65], v[68:69], v[0:1], v[2:3]
	ds_load_b128 v[0:3], v199 offset:33792
	s_wait_dscnt 0x0
	v_mul_f64_e32 v[4:5], v[62:63], v[0:1]
	s_delay_alu instid0(VALU_DEP_1) | instskip(SKIP_1) | instid1(VALU_DEP_1)
	v_fma_f64 v[66:67], v[60:61], v[2:3], -v[4:5]
	v_mul_f64_e32 v[2:3], v[62:63], v[2:3]
	v_fma_f64 v[60:61], v[60:61], v[0:1], v[2:3]
	ds_load_b128 v[0:3], v199 offset:6144
	s_wait_dscnt 0x0
	v_mul_f64_e32 v[4:5], v[54:55], v[0:1]
	s_delay_alu instid0(VALU_DEP_1) | instskip(SKIP_1) | instid1(VALU_DEP_1)
	v_fma_f64 v[62:63], v[52:53], v[2:3], -v[4:5]
	v_mul_f64_e32 v[2:3], v[54:55], v[2:3]
	v_fma_f64 v[52:53], v[52:53], v[0:1], v[2:3]
	ds_load_b128 v[0:3], v199 offset:15360
	s_wait_dscnt 0x0
	v_mul_f64_e32 v[4:5], v[74:75], v[2:3]
	s_delay_alu instid0(VALU_DEP_1) | instskip(SKIP_1) | instid1(VALU_DEP_1)
	v_fma_f64 v[68:69], v[72:73], v[0:1], v[4:5]
	v_mul_f64_e32 v[0:1], v[74:75], v[0:1]
	v_fma_f64 v[70:71], v[72:73], v[2:3], -v[0:1]
	ds_load_b128 v[0:3], v199 offset:27648
	s_wait_dscnt 0x0
	v_mul_f64_e32 v[4:5], v[78:79], v[2:3]
	s_delay_alu instid0(VALU_DEP_1) | instskip(SKIP_1) | instid1(VALU_DEP_1)
	v_fma_f64 v[72:73], v[76:77], v[0:1], v[4:5]
	v_mul_f64_e32 v[0:1], v[78:79], v[0:1]
	v_fma_f64 v[74:75], v[76:77], v[2:3], -v[0:1]
	ds_load_b128 v[0:3], v199 offset:9216
	s_wait_dscnt 0x0
	v_mul_f64_e32 v[4:5], v[50:51], v[0:1]
	s_delay_alu instid0(VALU_DEP_1) | instskip(SKIP_2) | instid1(VALU_DEP_2)
	v_fma_f64 v[76:77], v[48:49], v[2:3], -v[4:5]
	v_mul_f64_e32 v[2:3], v[50:51], v[2:3]
	v_add_f64_e32 v[4:5], v[8:9], v[16:17]
	v_fma_f64 v[78:79], v[48:49], v[0:1], v[2:3]
	ds_load_b128 v[0:3], v199
	s_wait_dscnt 0x0
	v_fma_f64 v[48:49], v[4:5], -0.5, v[0:1]
	v_add_f64_e32 v[4:5], v[10:11], v[18:19]
	v_add_f64_e32 v[0:1], v[0:1], v[8:9]
	s_delay_alu instid0(VALU_DEP_2) | instskip(NEXT) | instid1(VALU_DEP_2)
	v_fma_f64 v[50:51], v[4:5], -0.5, v[2:3]
	v_add_f64_e32 v[4:5], v[0:1], v[16:17]
	v_add_f64_e32 v[0:1], v[52:53], v[12:13]
	;; [unrolled: 1-line block ×3, first 2 shown]
	v_add_f64_e64 v[16:17], v[8:9], -v[16:17]
	s_delay_alu instid0(VALU_DEP_3) | instskip(SKIP_1) | instid1(VALU_DEP_4)
	v_add_f64_e32 v[54:55], v[0:1], v[22:23]
	v_add_f64_e32 v[0:1], v[62:63], v[14:15]
	;; [unrolled: 1-line block ×3, first 2 shown]
	v_add_f64_e64 v[18:19], v[10:11], -v[18:19]
	s_delay_alu instid0(VALU_DEP_3)
	v_add_f64_e32 v[80:81], v[0:1], v[56:57]
	v_add_f64_e32 v[0:1], v[4:5], v[54:55]
	v_add_f64_e64 v[4:5], v[4:5], -v[54:55]
	v_add_f64_e32 v[54:55], v[12:13], v[22:23]
	v_add_f64_e64 v[22:23], v[12:13], -v[22:23]
	;; [unrolled: 2-line block ×4, first 2 shown]
	v_fma_f64 v[80:81], v[16:17], s[2:3], v[50:51]
	v_fma_f64 v[52:53], v[54:55], -0.5, v[52:53]
	v_fma_f64 v[50:51], v[16:17], s[12:13], v[50:51]
	v_fma_f64 v[62:63], v[12:13], -0.5, v[62:63]
	s_delay_alu instid0(VALU_DEP_3) | instskip(SKIP_1) | instid1(VALU_DEP_3)
	v_fma_f64 v[12:13], v[56:57], s[12:13], v[52:53]
	v_fma_f64 v[52:53], v[56:57], s[2:3], v[52:53]
	;; [unrolled: 1-line block ×4, first 2 shown]
	s_delay_alu instid0(VALU_DEP_2) | instskip(SKIP_1) | instid1(VALU_DEP_3)
	v_mul_f64_e32 v[10:11], s[12:13], v[8:9]
	v_mul_f64_e32 v[8:9], 0.5, v[8:9]
	v_mul_f64_e32 v[16:17], s[12:13], v[22:23]
	s_delay_alu instid0(VALU_DEP_3) | instskip(NEXT) | instid1(VALU_DEP_3)
	v_fma_f64 v[14:15], v[12:13], 0.5, v[10:11]
	v_fma_f64 v[54:55], v[12:13], s[2:3], v[8:9]
	v_fma_f64 v[12:13], v[18:19], s[12:13], v[48:49]
	;; [unrolled: 1-line block ×3, first 2 shown]
	v_mul_f64_e32 v[18:19], -0.5, v[22:23]
	v_fma_f64 v[22:23], v[52:53], -0.5, v[16:17]
	v_add_f64_e32 v[10:11], v[80:81], v[54:55]
	v_add_f64_e32 v[8:9], v[12:13], v[14:15]
	v_add_f64_e64 v[12:13], v[12:13], -v[14:15]
	v_fma_f64 v[52:53], v[52:53], s[2:3], v[18:19]
	v_add_f64_e32 v[16:17], v[48:49], v[22:23]
	v_add_f64_e64 v[14:15], v[80:81], -v[54:55]
	v_add_f64_e64 v[48:49], v[48:49], -v[22:23]
	;; [unrolled: 1-line block ×3, first 2 shown]
	v_add_f64_e32 v[18:19], v[50:51], v[52:53]
	v_add_f64_e64 v[50:51], v[50:51], -v[52:53]
	ds_load_b128 v[52:55], v199 offset:3072
	global_wb scope:SCOPE_SE
	s_wait_dscnt 0x0
	s_barrier_signal -1
	s_barrier_wait -1
	global_inv scope:SCOPE_SE
	ds_store_b128 v204, v[0:3]
	ds_store_b128 v204, v[4:7] offset:288
	ds_store_b128 v204, v[8:11] offset:96
	;; [unrolled: 1-line block ×5, first 2 shown]
	v_add_f64_e32 v[0:1], v[68:69], v[72:73]
	v_add_f64_e32 v[2:3], v[54:55], v[70:71]
	v_add_f64_e64 v[50:51], v[58:59], -v[66:67]
	s_delay_alu instid0(VALU_DEP_3) | instskip(SKIP_1) | instid1(VALU_DEP_4)
	v_fma_f64 v[16:17], v[0:1], -0.5, v[52:53]
	v_add_f64_e32 v[0:1], v[70:71], v[74:75]
	v_add_f64_e32 v[6:7], v[2:3], v[74:75]
	s_delay_alu instid0(VALU_DEP_2) | instskip(SKIP_3) | instid1(VALU_DEP_3)
	v_fma_f64 v[18:19], v[0:1], -0.5, v[54:55]
	v_add_f64_e32 v[0:1], v[52:53], v[68:69]
	v_add_f64_e64 v[52:53], v[70:71], -v[74:75]
	v_add_f64_e64 v[54:55], v[68:69], -v[72:73]
	v_add_f64_e32 v[4:5], v[0:1], v[72:73]
	v_add_f64_e32 v[0:1], v[78:79], v[64:65]
	s_delay_alu instid0(VALU_DEP_1) | instskip(SKIP_1) | instid1(VALU_DEP_1)
	v_add_f64_e32 v[8:9], v[0:1], v[60:61]
	v_add_f64_e32 v[0:1], v[76:77], v[58:59]
	;; [unrolled: 1-line block ×3, first 2 shown]
	s_delay_alu instid0(VALU_DEP_3)
	v_add_f64_e32 v[0:1], v[4:5], v[8:9]
	v_add_f64_e64 v[4:5], v[4:5], -v[8:9]
	v_add_f64_e32 v[8:9], v[64:65], v[60:61]
	v_fma_f64 v[60:61], v[54:55], s[2:3], v[18:19]
	v_add_f64_e32 v[2:3], v[6:7], v[10:11]
	v_add_f64_e64 v[6:7], v[6:7], -v[10:11]
	v_add_f64_e32 v[10:11], v[58:59], v[66:67]
	v_fma_f64 v[56:57], v[8:9], -0.5, v[78:79]
	s_delay_alu instid0(VALU_DEP_2) | instskip(NEXT) | instid1(VALU_DEP_2)
	v_fma_f64 v[48:49], v[10:11], -0.5, v[76:77]
	v_fma_f64 v[12:13], v[50:51], s[12:13], v[56:57]
	s_delay_alu instid0(VALU_DEP_2) | instskip(SKIP_3) | instid1(VALU_DEP_4)
	v_fma_f64 v[8:9], v[22:23], s[2:3], v[48:49]
	v_fma_f64 v[22:23], v[22:23], s[12:13], v[48:49]
	;; [unrolled: 1-line block ×4, first 2 shown]
	v_mul_f64_e32 v[10:11], s[12:13], v[8:9]
	v_mul_f64_e32 v[8:9], 0.5, v[8:9]
	s_delay_alu instid0(VALU_DEP_2) | instskip(NEXT) | instid1(VALU_DEP_2)
	v_fma_f64 v[14:15], v[12:13], 0.5, v[10:11]
	v_fma_f64 v[58:59], v[12:13], s[2:3], v[8:9]
	v_fma_f64 v[12:13], v[52:53], s[12:13], v[16:17]
	;; [unrolled: 1-line block ×3, first 2 shown]
	v_mul_f64_e32 v[16:17], s[12:13], v[22:23]
	v_mul_f64_e32 v[18:19], -0.5, v[22:23]
	v_add_f64_e32 v[10:11], v[60:61], v[58:59]
	v_add_f64_e32 v[8:9], v[12:13], v[14:15]
	v_add_f64_e64 v[12:13], v[12:13], -v[14:15]
	v_fma_f64 v[22:23], v[48:49], -0.5, v[16:17]
	v_fma_f64 v[54:55], v[48:49], s[2:3], v[18:19]
	v_add_f64_e64 v[14:15], v[60:61], -v[58:59]
	s_mov_b32 s2, 0x1c71c71c
	s_mov_b32 s3, 0x3f3c71c7
	s_delay_alu instid0(VALU_DEP_3) | instskip(NEXT) | instid1(VALU_DEP_3)
	v_add_f64_e32 v[16:17], v[50:51], v[22:23]
	v_add_f64_e32 v[18:19], v[52:53], v[54:55]
	v_add_f64_e64 v[48:49], v[50:51], -v[22:23]
	v_add_f64_e64 v[50:51], v[52:53], -v[54:55]
	ds_store_b128 v203, v[0:3]
	ds_store_b128 v203, v[8:11] offset:96
	ds_store_b128 v203, v[16:19] offset:192
	;; [unrolled: 1-line block ×5, first 2 shown]
	global_wb scope:SCOPE_SE
	s_wait_dscnt 0x0
	s_barrier_signal -1
	s_barrier_wait -1
	global_inv scope:SCOPE_SE
	ds_load_b128 v[0:3], v199 offset:9216
	s_wait_dscnt 0x0
	v_mul_f64_e32 v[4:5], v[86:87], v[2:3]
	s_delay_alu instid0(VALU_DEP_1) | instskip(SKIP_1) | instid1(VALU_DEP_1)
	v_fma_f64 v[16:17], v[84:85], v[0:1], v[4:5]
	v_mul_f64_e32 v[0:1], v[86:87], v[0:1]
	v_fma_f64 v[18:19], v[84:85], v[2:3], -v[0:1]
	ds_load_b128 v[0:3], v199 offset:18432
	s_wait_dscnt 0x0
	v_mul_f64_e32 v[4:5], v[94:95], v[2:3]
	s_delay_alu instid0(VALU_DEP_1) | instskip(SKIP_1) | instid1(VALU_DEP_1)
	v_fma_f64 v[4:5], v[92:93], v[0:1], v[4:5]
	v_mul_f64_e32 v[0:1], v[94:95], v[0:1]
	v_fma_f64 v[6:7], v[92:93], v[2:3], -v[0:1]
	ds_load_b128 v[0:3], v199 offset:27648
	s_wait_dscnt 0x0
	v_mul_f64_e32 v[8:9], v[98:99], v[2:3]
	s_delay_alu instid0(VALU_DEP_1) | instskip(SKIP_1) | instid1(VALU_DEP_2)
	v_fma_f64 v[8:9], v[96:97], v[0:1], v[8:9]
	v_mul_f64_e32 v[0:1], v[98:99], v[0:1]
	v_add_f64_e64 v[76:77], v[16:17], -v[8:9]
	s_delay_alu instid0(VALU_DEP_2) | instskip(SKIP_4) | instid1(VALU_DEP_2)
	v_fma_f64 v[10:11], v[96:97], v[2:3], -v[0:1]
	ds_load_b128 v[0:3], v199 offset:12288
	s_wait_dscnt 0x0
	v_mul_f64_e32 v[12:13], v[102:103], v[2:3]
	v_add_f64_e64 v[74:75], v[18:19], -v[10:11]
	v_fma_f64 v[22:23], v[100:101], v[0:1], v[12:13]
	v_mul_f64_e32 v[0:1], v[102:103], v[0:1]
	s_delay_alu instid0(VALU_DEP_1) | instskip(SKIP_3) | instid1(VALU_DEP_1)
	v_fma_f64 v[48:49], v[100:101], v[2:3], -v[0:1]
	ds_load_b128 v[0:3], v199 offset:21504
	s_wait_dscnt 0x0
	v_mul_f64_e32 v[12:13], v[106:107], v[2:3]
	v_fma_f64 v[50:51], v[104:105], v[0:1], v[12:13]
	v_mul_f64_e32 v[0:1], v[106:107], v[0:1]
	s_delay_alu instid0(VALU_DEP_1) | instskip(SKIP_3) | instid1(VALU_DEP_1)
	v_fma_f64 v[52:53], v[104:105], v[2:3], -v[0:1]
	ds_load_b128 v[0:3], v199 offset:30720
	s_wait_dscnt 0x0
	v_mul_f64_e32 v[12:13], v[110:111], v[2:3]
	;; [unrolled: 7-line block ×5, first 2 shown]
	v_fma_f64 v[66:67], v[120:121], v[0:1], v[12:13]
	v_mul_f64_e32 v[0:1], v[122:123], v[0:1]
	s_delay_alu instid0(VALU_DEP_1)
	v_fma_f64 v[68:69], v[120:121], v[2:3], -v[0:1]
	ds_load_b128 v[0:3], v199
	ds_load_b128 v[8:11], v199 offset:3072
	ds_load_b128 v[12:15], v199 offset:6144
	global_wb scope:SCOPE_SE
	s_wait_dscnt 0x0
	s_barrier_signal -1
	s_barrier_wait -1
	global_inv scope:SCOPE_SE
	v_add_f64_e64 v[4:5], v[0:1], -v[4:5]
	v_add_f64_e64 v[6:7], v[2:3], -v[6:7]
	s_delay_alu instid0(VALU_DEP_2) | instskip(NEXT) | instid1(VALU_DEP_2)
	v_fma_f64 v[70:71], v[0:1], 2.0, -v[4:5]
	v_fma_f64 v[72:73], v[2:3], 2.0, -v[6:7]
	v_add_f64_e32 v[0:1], v[4:5], v[74:75]
	v_add_f64_e64 v[2:3], v[6:7], -v[76:77]
	s_delay_alu instid0(VALU_DEP_2) | instskip(NEXT) | instid1(VALU_DEP_2)
	v_fma_f64 v[4:5], v[4:5], 2.0, -v[0:1]
	v_fma_f64 v[6:7], v[6:7], 2.0, -v[2:3]
	ds_store_b128 v196, v[0:3] offset:1728
	v_fma_f64 v[0:1], v[16:17], 2.0, -v[76:77]
	v_fma_f64 v[2:3], v[18:19], 2.0, -v[74:75]
	s_delay_alu instid0(VALU_DEP_2) | instskip(NEXT) | instid1(VALU_DEP_2)
	v_add_f64_e64 v[0:1], v[70:71], -v[0:1]
	v_add_f64_e64 v[2:3], v[72:73], -v[2:3]
	s_delay_alu instid0(VALU_DEP_2) | instskip(NEXT) | instid1(VALU_DEP_2)
	v_fma_f64 v[16:17], v[70:71], 2.0, -v[0:1]
	v_fma_f64 v[18:19], v[72:73], 2.0, -v[2:3]
	ds_store_b128 v196, v[0:3] offset:1152
	ds_store_b128 v196, v[4:7] offset:576
	ds_store_b128 v196, v[16:19]
	v_add_f64_e64 v[16:17], v[8:9], -v[50:51]
	v_add_f64_e64 v[18:19], v[10:11], -v[52:53]
	s_delay_alu instid0(VALU_DEP_2) | instskip(NEXT) | instid1(VALU_DEP_2)
	v_fma_f64 v[4:5], v[8:9], 2.0, -v[16:17]
	v_fma_f64 v[6:7], v[10:11], 2.0, -v[18:19]
	v_add_f64_e64 v[8:9], v[22:23], -v[54:55]
	v_add_f64_e64 v[10:11], v[48:49], -v[56:57]
	s_delay_alu instid0(VALU_DEP_2) | instskip(NEXT) | instid1(VALU_DEP_2)
	v_fma_f64 v[0:1], v[22:23], 2.0, -v[8:9]
	v_fma_f64 v[2:3], v[48:49], 2.0, -v[10:11]
	s_delay_alu instid0(VALU_DEP_2) | instskip(NEXT) | instid1(VALU_DEP_2)
	v_add_f64_e64 v[0:1], v[4:5], -v[0:1]
	v_add_f64_e64 v[2:3], v[6:7], -v[2:3]
	s_delay_alu instid0(VALU_DEP_2) | instskip(NEXT) | instid1(VALU_DEP_2)
	v_fma_f64 v[4:5], v[4:5], 2.0, -v[0:1]
	v_fma_f64 v[6:7], v[6:7], 2.0, -v[2:3]
	ds_store_b128 v20, v[4:7]
	v_add_f64_e32 v[4:5], v[16:17], v[10:11]
	v_add_f64_e64 v[6:7], v[18:19], -v[8:9]
	s_delay_alu instid0(VALU_DEP_2) | instskip(NEXT) | instid1(VALU_DEP_2)
	v_fma_f64 v[8:9], v[16:17], 2.0, -v[4:5]
	v_fma_f64 v[10:11], v[18:19], 2.0, -v[6:7]
	ds_store_b128 v20, v[8:11] offset:576
	ds_store_b128 v20, v[0:3] offset:1152
	;; [unrolled: 1-line block ×3, first 2 shown]
	v_add_f64_e64 v[8:9], v[12:13], -v[62:63]
	v_add_f64_e64 v[10:11], v[14:15], -v[64:65]
	s_delay_alu instid0(VALU_DEP_2) | instskip(NEXT) | instid1(VALU_DEP_2)
	v_fma_f64 v[4:5], v[12:13], 2.0, -v[8:9]
	v_fma_f64 v[6:7], v[14:15], 2.0, -v[10:11]
	v_add_f64_e64 v[12:13], v[58:59], -v[66:67]
	v_add_f64_e64 v[14:15], v[60:61], -v[68:69]
	s_delay_alu instid0(VALU_DEP_2) | instskip(NEXT) | instid1(VALU_DEP_2)
	v_fma_f64 v[0:1], v[58:59], 2.0, -v[12:13]
	v_fma_f64 v[2:3], v[60:61], 2.0, -v[14:15]
	s_delay_alu instid0(VALU_DEP_2) | instskip(NEXT) | instid1(VALU_DEP_2)
	v_add_f64_e64 v[0:1], v[4:5], -v[0:1]
	v_add_f64_e64 v[2:3], v[6:7], -v[2:3]
	s_delay_alu instid0(VALU_DEP_2) | instskip(NEXT) | instid1(VALU_DEP_2)
	v_fma_f64 v[4:5], v[4:5], 2.0, -v[0:1]
	v_fma_f64 v[6:7], v[6:7], 2.0, -v[2:3]
	ds_store_b128 v255, v[4:7]
	v_add_f64_e32 v[4:5], v[8:9], v[14:15]
	v_add_f64_e64 v[6:7], v[10:11], -v[12:13]
	s_delay_alu instid0(VALU_DEP_2) | instskip(NEXT) | instid1(VALU_DEP_2)
	v_fma_f64 v[8:9], v[8:9], 2.0, -v[4:5]
	v_fma_f64 v[10:11], v[10:11], 2.0, -v[6:7]
	ds_store_b128 v255, v[8:11] offset:576
	ds_store_b128 v255, v[0:3] offset:1152
	;; [unrolled: 1-line block ×3, first 2 shown]
	global_wb scope:SCOPE_SE
	s_wait_dscnt 0x0
	s_barrier_signal -1
	s_barrier_wait -1
	global_inv scope:SCOPE_SE
	ds_load_b128 v[0:3], v199 offset:9216
	s_wait_dscnt 0x0
	v_mul_f64_e32 v[4:5], v[126:127], v[2:3]
	s_delay_alu instid0(VALU_DEP_1) | instskip(SKIP_1) | instid1(VALU_DEP_1)
	v_fma_f64 v[16:17], v[124:125], v[0:1], v[4:5]
	v_mul_f64_e32 v[0:1], v[126:127], v[0:1]
	v_fma_f64 v[18:19], v[124:125], v[2:3], -v[0:1]
	ds_load_b128 v[0:3], v199 offset:18432
	s_wait_dscnt 0x0
	v_mul_f64_e32 v[4:5], v[130:131], v[2:3]
	s_delay_alu instid0(VALU_DEP_1) | instskip(SKIP_1) | instid1(VALU_DEP_1)
	v_fma_f64 v[4:5], v[128:129], v[0:1], v[4:5]
	v_mul_f64_e32 v[0:1], v[130:131], v[0:1]
	v_fma_f64 v[6:7], v[128:129], v[2:3], -v[0:1]
	ds_load_b128 v[0:3], v199 offset:27648
	s_wait_dscnt 0x0
	v_mul_f64_e32 v[8:9], v[134:135], v[2:3]
	s_delay_alu instid0(VALU_DEP_1) | instskip(SKIP_1) | instid1(VALU_DEP_2)
	v_fma_f64 v[8:9], v[132:133], v[0:1], v[8:9]
	v_mul_f64_e32 v[0:1], v[134:135], v[0:1]
	v_add_f64_e64 v[76:77], v[16:17], -v[8:9]
	s_delay_alu instid0(VALU_DEP_2) | instskip(SKIP_4) | instid1(VALU_DEP_2)
	v_fma_f64 v[10:11], v[132:133], v[2:3], -v[0:1]
	ds_load_b128 v[0:3], v199 offset:12288
	s_wait_dscnt 0x0
	v_mul_f64_e32 v[12:13], v[138:139], v[2:3]
	v_add_f64_e64 v[74:75], v[18:19], -v[10:11]
	v_fma_f64 v[22:23], v[136:137], v[0:1], v[12:13]
	v_mul_f64_e32 v[0:1], v[138:139], v[0:1]
	s_delay_alu instid0(VALU_DEP_1) | instskip(SKIP_3) | instid1(VALU_DEP_1)
	v_fma_f64 v[48:49], v[136:137], v[2:3], -v[0:1]
	ds_load_b128 v[0:3], v199 offset:21504
	s_wait_dscnt 0x0
	v_mul_f64_e32 v[12:13], v[142:143], v[2:3]
	v_fma_f64 v[50:51], v[140:141], v[0:1], v[12:13]
	v_mul_f64_e32 v[0:1], v[142:143], v[0:1]
	s_delay_alu instid0(VALU_DEP_1) | instskip(SKIP_3) | instid1(VALU_DEP_1)
	v_fma_f64 v[52:53], v[140:141], v[2:3], -v[0:1]
	ds_load_b128 v[0:3], v199 offset:30720
	s_wait_dscnt 0x0
	v_mul_f64_e32 v[12:13], v[146:147], v[2:3]
	;; [unrolled: 7-line block ×5, first 2 shown]
	v_fma_f64 v[66:67], v[156:157], v[0:1], v[12:13]
	v_mul_f64_e32 v[0:1], v[158:159], v[0:1]
	s_delay_alu instid0(VALU_DEP_1)
	v_fma_f64 v[68:69], v[156:157], v[2:3], -v[0:1]
	ds_load_b128 v[0:3], v199
	ds_load_b128 v[8:11], v199 offset:3072
	ds_load_b128 v[12:15], v199 offset:6144
	global_wb scope:SCOPE_SE
	s_wait_dscnt 0x0
	s_barrier_signal -1
	s_barrier_wait -1
	global_inv scope:SCOPE_SE
	v_add_f64_e64 v[4:5], v[0:1], -v[4:5]
	v_add_f64_e64 v[6:7], v[2:3], -v[6:7]
	s_delay_alu instid0(VALU_DEP_2) | instskip(NEXT) | instid1(VALU_DEP_2)
	v_fma_f64 v[70:71], v[0:1], 2.0, -v[4:5]
	v_fma_f64 v[72:73], v[2:3], 2.0, -v[6:7]
	v_add_f64_e32 v[0:1], v[4:5], v[74:75]
	v_add_f64_e64 v[2:3], v[6:7], -v[76:77]
	s_delay_alu instid0(VALU_DEP_2) | instskip(NEXT) | instid1(VALU_DEP_2)
	v_fma_f64 v[4:5], v[4:5], 2.0, -v[0:1]
	v_fma_f64 v[6:7], v[6:7], 2.0, -v[2:3]
	ds_store_b128 v210, v[0:3] offset:6912
	v_fma_f64 v[0:1], v[16:17], 2.0, -v[76:77]
	v_fma_f64 v[2:3], v[18:19], 2.0, -v[74:75]
	s_delay_alu instid0(VALU_DEP_2) | instskip(NEXT) | instid1(VALU_DEP_2)
	v_add_f64_e64 v[0:1], v[70:71], -v[0:1]
	v_add_f64_e64 v[2:3], v[72:73], -v[2:3]
	s_delay_alu instid0(VALU_DEP_2) | instskip(NEXT) | instid1(VALU_DEP_2)
	v_fma_f64 v[16:17], v[70:71], 2.0, -v[0:1]
	v_fma_f64 v[18:19], v[72:73], 2.0, -v[2:3]
	ds_store_b128 v210, v[0:3] offset:4608
	ds_store_b128 v210, v[4:7] offset:2304
	ds_store_b128 v210, v[16:19]
	v_add_f64_e64 v[16:17], v[8:9], -v[50:51]
	v_add_f64_e64 v[18:19], v[10:11], -v[52:53]
	s_delay_alu instid0(VALU_DEP_2) | instskip(NEXT) | instid1(VALU_DEP_2)
	v_fma_f64 v[4:5], v[8:9], 2.0, -v[16:17]
	v_fma_f64 v[6:7], v[10:11], 2.0, -v[18:19]
	v_add_f64_e64 v[8:9], v[22:23], -v[54:55]
	v_add_f64_e64 v[10:11], v[48:49], -v[56:57]
	s_delay_alu instid0(VALU_DEP_2) | instskip(NEXT) | instid1(VALU_DEP_2)
	v_fma_f64 v[0:1], v[22:23], 2.0, -v[8:9]
	v_fma_f64 v[2:3], v[48:49], 2.0, -v[10:11]
	s_delay_alu instid0(VALU_DEP_2) | instskip(NEXT) | instid1(VALU_DEP_2)
	v_add_f64_e64 v[0:1], v[4:5], -v[0:1]
	v_add_f64_e64 v[2:3], v[6:7], -v[2:3]
	s_delay_alu instid0(VALU_DEP_2) | instskip(NEXT) | instid1(VALU_DEP_2)
	v_fma_f64 v[4:5], v[4:5], 2.0, -v[0:1]
	v_fma_f64 v[6:7], v[6:7], 2.0, -v[2:3]
	ds_store_b128 v209, v[4:7]
	v_add_f64_e32 v[4:5], v[16:17], v[10:11]
	v_add_f64_e64 v[6:7], v[18:19], -v[8:9]
	s_delay_alu instid0(VALU_DEP_2) | instskip(NEXT) | instid1(VALU_DEP_2)
	v_fma_f64 v[8:9], v[16:17], 2.0, -v[4:5]
	v_fma_f64 v[10:11], v[18:19], 2.0, -v[6:7]
	ds_store_b128 v209, v[8:11] offset:2304
	ds_store_b128 v209, v[0:3] offset:4608
	;; [unrolled: 1-line block ×3, first 2 shown]
	v_add_f64_e64 v[8:9], v[12:13], -v[62:63]
	v_add_f64_e64 v[10:11], v[14:15], -v[64:65]
	s_delay_alu instid0(VALU_DEP_2) | instskip(NEXT) | instid1(VALU_DEP_2)
	v_fma_f64 v[4:5], v[12:13], 2.0, -v[8:9]
	v_fma_f64 v[6:7], v[14:15], 2.0, -v[10:11]
	v_add_f64_e64 v[12:13], v[58:59], -v[66:67]
	v_add_f64_e64 v[14:15], v[60:61], -v[68:69]
	s_delay_alu instid0(VALU_DEP_2) | instskip(NEXT) | instid1(VALU_DEP_2)
	v_fma_f64 v[0:1], v[58:59], 2.0, -v[12:13]
	v_fma_f64 v[2:3], v[60:61], 2.0, -v[14:15]
	s_delay_alu instid0(VALU_DEP_2) | instskip(NEXT) | instid1(VALU_DEP_2)
	v_add_f64_e64 v[0:1], v[4:5], -v[0:1]
	v_add_f64_e64 v[2:3], v[6:7], -v[2:3]
	s_delay_alu instid0(VALU_DEP_2) | instskip(NEXT) | instid1(VALU_DEP_2)
	v_fma_f64 v[4:5], v[4:5], 2.0, -v[0:1]
	v_fma_f64 v[6:7], v[6:7], 2.0, -v[2:3]
	ds_store_b128 v21, v[4:7]
	v_add_f64_e32 v[4:5], v[8:9], v[14:15]
	v_add_f64_e64 v[6:7], v[10:11], -v[12:13]
	s_delay_alu instid0(VALU_DEP_2) | instskip(NEXT) | instid1(VALU_DEP_2)
	v_fma_f64 v[8:9], v[8:9], 2.0, -v[4:5]
	v_fma_f64 v[10:11], v[10:11], 2.0, -v[6:7]
	ds_store_b128 v21, v[8:11] offset:2304
	ds_store_b128 v21, v[0:3] offset:4608
	;; [unrolled: 1-line block ×3, first 2 shown]
	global_wb scope:SCOPE_SE
	s_wait_dscnt 0x0
	s_barrier_signal -1
	s_barrier_wait -1
	global_inv scope:SCOPE_SE
	ds_load_b128 v[0:3], v199 offset:9216
	s_wait_dscnt 0x0
	v_mul_f64_e32 v[4:5], v[162:163], v[2:3]
	s_delay_alu instid0(VALU_DEP_1) | instskip(SKIP_1) | instid1(VALU_DEP_1)
	v_fma_f64 v[16:17], v[160:161], v[0:1], v[4:5]
	v_mul_f64_e32 v[0:1], v[162:163], v[0:1]
	v_fma_f64 v[18:19], v[160:161], v[2:3], -v[0:1]
	ds_load_b128 v[0:3], v199 offset:18432
	s_wait_dscnt 0x0
	v_mul_f64_e32 v[4:5], v[170:171], v[2:3]
	s_delay_alu instid0(VALU_DEP_1) | instskip(SKIP_1) | instid1(VALU_DEP_1)
	v_fma_f64 v[4:5], v[168:169], v[0:1], v[4:5]
	v_mul_f64_e32 v[0:1], v[170:171], v[0:1]
	v_fma_f64 v[6:7], v[168:169], v[2:3], -v[0:1]
	;; [unrolled: 7-line block ×4, first 2 shown]
	ds_load_b128 v[0:3], v199 offset:30720
	s_wait_dscnt 0x0
	v_mul_f64_e32 v[12:13], v[182:183], v[2:3]
	s_delay_alu instid0(VALU_DEP_1) | instskip(SKIP_1) | instid1(VALU_DEP_2)
	v_fma_f64 v[12:13], v[180:181], v[0:1], v[12:13]
	v_mul_f64_e32 v[0:1], v[182:183], v[0:1]
	v_add_f64_e64 v[74:75], v[20:21], -v[12:13]
	s_delay_alu instid0(VALU_DEP_2) | instskip(SKIP_4) | instid1(VALU_DEP_2)
	v_fma_f64 v[14:15], v[180:181], v[2:3], -v[0:1]
	ds_load_b128 v[0:3], v199 offset:15360
	s_wait_dscnt 0x0
	v_mul_f64_e32 v[48:49], v[186:187], v[2:3]
	v_add_f64_e64 v[72:73], v[22:23], -v[14:15]
	v_fma_f64 v[48:49], v[184:185], v[0:1], v[48:49]
	v_mul_f64_e32 v[0:1], v[186:187], v[0:1]
	s_delay_alu instid0(VALU_DEP_1) | instskip(SKIP_3) | instid1(VALU_DEP_1)
	v_fma_f64 v[50:51], v[184:185], v[2:3], -v[0:1]
	ds_load_b128 v[0:3], v199 offset:24576
	s_wait_dscnt 0x0
	v_mul_f64_e32 v[52:53], v[190:191], v[2:3]
	v_fma_f64 v[52:53], v[188:189], v[0:1], v[52:53]
	v_mul_f64_e32 v[0:1], v[190:191], v[0:1]
	s_delay_alu instid0(VALU_DEP_1) | instskip(SKIP_3) | instid1(VALU_DEP_1)
	v_fma_f64 v[54:55], v[188:189], v[2:3], -v[0:1]
	ds_load_b128 v[0:3], v199 offset:33792
	s_wait_dscnt 0x0
	v_mul_f64_e32 v[56:57], v[194:195], v[2:3]
	v_fma_f64 v[56:57], v[192:193], v[0:1], v[56:57]
	v_mul_f64_e32 v[0:1], v[194:195], v[0:1]
	s_delay_alu instid0(VALU_DEP_2) | instskip(NEXT) | instid1(VALU_DEP_2)
	v_add_f64_e64 v[56:57], v[48:49], -v[56:57]
	v_fma_f64 v[58:59], v[192:193], v[2:3], -v[0:1]
	ds_load_b128 v[0:3], v199 offset:27648
	s_wait_dscnt 0x0
	v_mul_f64_e32 v[60:61], v[166:167], v[2:3]
	v_add_f64_e64 v[58:59], v[50:51], -v[58:59]
	s_delay_alu instid0(VALU_DEP_2) | instskip(SKIP_1) | instid1(VALU_DEP_2)
	v_fma_f64 v[60:61], v[164:165], v[0:1], v[60:61]
	v_mul_f64_e32 v[0:1], v[166:167], v[0:1]
	v_add_f64_e64 v[60:61], v[16:17], -v[60:61]
	s_delay_alu instid0(VALU_DEP_2)
	v_fma_f64 v[62:63], v[164:165], v[2:3], -v[0:1]
	ds_load_b128 v[0:3], v199
	s_wait_dscnt 0x0
	v_add_f64_e64 v[4:5], v[0:1], -v[4:5]
	v_add_f64_e64 v[6:7], v[2:3], -v[6:7]
	v_add_f64_e64 v[62:63], v[18:19], -v[62:63]
	s_delay_alu instid0(VALU_DEP_3) | instskip(NEXT) | instid1(VALU_DEP_3)
	v_fma_f64 v[64:65], v[0:1], 2.0, -v[4:5]
	v_fma_f64 v[66:67], v[2:3], 2.0, -v[6:7]
	v_add_f64_e64 v[2:3], v[6:7], -v[60:61]
	s_delay_alu instid0(VALU_DEP_4) | instskip(NEXT) | instid1(VALU_DEP_2)
	v_add_f64_e32 v[0:1], v[4:5], v[62:63]
	v_fma_f64 v[6:7], v[6:7], 2.0, -v[2:3]
	s_delay_alu instid0(VALU_DEP_2)
	v_fma_f64 v[4:5], v[4:5], 2.0, -v[0:1]
	ds_store_b128 v199, v[0:3] offset:27648
	ds_load_b128 v[0:3], v199 offset:3072
	s_wait_dscnt 0x0
	v_add_f64_e64 v[8:9], v[0:1], -v[8:9]
	v_add_f64_e64 v[10:11], v[2:3], -v[10:11]
	s_delay_alu instid0(VALU_DEP_2) | instskip(NEXT) | instid1(VALU_DEP_2)
	v_fma_f64 v[68:69], v[0:1], 2.0, -v[8:9]
	v_fma_f64 v[70:71], v[2:3], 2.0, -v[10:11]
	v_add_f64_e32 v[0:1], v[8:9], v[72:73]
	v_add_f64_e64 v[2:3], v[10:11], -v[74:75]
	s_delay_alu instid0(VALU_DEP_2) | instskip(NEXT) | instid1(VALU_DEP_2)
	v_fma_f64 v[8:9], v[8:9], 2.0, -v[0:1]
	v_fma_f64 v[10:11], v[10:11], 2.0, -v[2:3]
	ds_store_b128 v199, v[0:3] offset:30720
	ds_load_b128 v[0:3], v199 offset:6144
	s_wait_dscnt 0x0
	v_add_f64_e64 v[12:13], v[0:1], -v[52:53]
	v_add_f64_e64 v[14:15], v[2:3], -v[54:55]
	s_delay_alu instid0(VALU_DEP_2) | instskip(NEXT) | instid1(VALU_DEP_2)
	v_fma_f64 v[52:53], v[0:1], 2.0, -v[12:13]
	v_fma_f64 v[54:55], v[2:3], 2.0, -v[14:15]
	v_add_f64_e32 v[0:1], v[12:13], v[58:59]
	v_add_f64_e64 v[2:3], v[14:15], -v[56:57]
	ds_store_b128 v199, v[0:3] offset:33792
	ds_store_b128 v199, v[4:7] offset:9216
	;; [unrolled: 1-line block ×3, first 2 shown]
	v_fma_f64 v[12:13], v[12:13], 2.0, -v[0:1]
	v_fma_f64 v[14:15], v[14:15], 2.0, -v[2:3]
	;; [unrolled: 1-line block ×4, first 2 shown]
	s_delay_alu instid0(VALU_DEP_2) | instskip(NEXT) | instid1(VALU_DEP_2)
	v_add_f64_e64 v[0:1], v[64:65], -v[0:1]
	v_add_f64_e64 v[2:3], v[66:67], -v[2:3]
	ds_store_b128 v199, v[0:3] offset:18432
	ds_store_b128 v199, v[12:15] offset:15360
	v_fma_f64 v[4:5], v[64:65], 2.0, -v[0:1]
	v_fma_f64 v[6:7], v[66:67], 2.0, -v[2:3]
	;; [unrolled: 1-line block ×4, first 2 shown]
	s_delay_alu instid0(VALU_DEP_2) | instskip(NEXT) | instid1(VALU_DEP_2)
	v_add_f64_e64 v[0:1], v[68:69], -v[0:1]
	v_add_f64_e64 v[2:3], v[70:71], -v[2:3]
	s_delay_alu instid0(VALU_DEP_2) | instskip(NEXT) | instid1(VALU_DEP_2)
	v_fma_f64 v[8:9], v[68:69], 2.0, -v[0:1]
	v_fma_f64 v[10:11], v[70:71], 2.0, -v[2:3]
	ds_store_b128 v199, v[0:3] offset:21504
	v_fma_f64 v[0:1], v[48:49], 2.0, -v[56:57]
	v_fma_f64 v[2:3], v[50:51], 2.0, -v[58:59]
	s_delay_alu instid0(VALU_DEP_2) | instskip(NEXT) | instid1(VALU_DEP_2)
	v_add_f64_e64 v[0:1], v[52:53], -v[0:1]
	v_add_f64_e64 v[2:3], v[54:55], -v[2:3]
	s_delay_alu instid0(VALU_DEP_2) | instskip(NEXT) | instid1(VALU_DEP_2)
	v_fma_f64 v[12:13], v[52:53], 2.0, -v[0:1]
	v_fma_f64 v[14:15], v[54:55], 2.0, -v[2:3]
	ds_store_b128 v199, v[0:3] offset:24576
	ds_store_b128 v199, v[8:11] offset:3072
	;; [unrolled: 1-line block ×3, first 2 shown]
	ds_store_b128 v199, v[4:7]
	global_wb scope:SCOPE_SE
	s_wait_dscnt 0x0
	s_barrier_signal -1
	s_barrier_wait -1
	global_inv scope:SCOPE_SE
	s_clause 0x4
	scratch_load_b128 v[6:9], off, off offset:88 th:TH_LOAD_LU
	scratch_load_b128 v[10:13], off, off offset:72 th:TH_LOAD_LU
	;; [unrolled: 1-line block ×5, first 2 shown]
	ds_load_b128 v[0:3], v199
	s_wait_loadcnt_dscnt 0x400
	v_mul_f64_e32 v[4:5], v[8:9], v[2:3]
	s_delay_alu instid0(VALU_DEP_1) | instskip(SKIP_1) | instid1(VALU_DEP_1)
	v_fma_f64 v[4:5], v[6:7], v[0:1], v[4:5]
	v_mul_f64_e32 v[0:1], v[8:9], v[0:1]
	v_fma_f64 v[6:7], v[6:7], v[2:3], -v[0:1]
	ds_load_b128 v[0:3], v199 offset:6144
	s_wait_loadcnt_dscnt 0x300
	v_mul_f64_e32 v[8:9], v[12:13], v[2:3]
	s_delay_alu instid0(VALU_DEP_1) | instskip(SKIP_1) | instid1(VALU_DEP_1)
	v_fma_f64 v[8:9], v[10:11], v[0:1], v[8:9]
	v_mul_f64_e32 v[0:1], v[12:13], v[0:1]
	v_fma_f64 v[10:11], v[10:11], v[2:3], -v[0:1]
	ds_load_b128 v[0:3], v199 offset:12288
	;; [unrolled: 7-line block ×3, first 2 shown]
	s_wait_dscnt 0x0
	v_mul_f64_e32 v[16:17], v[20:21], v[2:3]
	s_delay_alu instid0(VALU_DEP_1) | instskip(SKIP_1) | instid1(VALU_DEP_1)
	v_fma_f64 v[16:17], v[18:19], v[0:1], v[16:17]
	v_mul_f64_e32 v[0:1], v[20:21], v[0:1]
	v_fma_f64 v[18:19], v[18:19], v[2:3], -v[0:1]
	ds_load_b128 v[0:3], v199 offset:24576
	s_wait_loadcnt_dscnt 0x0
	v_mul_f64_e32 v[20:21], v[50:51], v[2:3]
	s_delay_alu instid0(VALU_DEP_1)
	v_fma_f64 v[20:21], v[48:49], v[0:1], v[20:21]
	v_mul_f64_e32 v[0:1], v[50:51], v[0:1]
	scratch_load_b128 v[50:53], off, off offset:40 th:TH_LOAD_LU ; 16-byte Folded Reload
	v_fma_f64 v[22:23], v[48:49], v[2:3], -v[0:1]
	ds_load_b128 v[0:3], v199 offset:30720
	s_wait_loadcnt_dscnt 0x0
	v_mul_f64_e32 v[48:49], v[52:53], v[2:3]
	s_delay_alu instid0(VALU_DEP_1) | instskip(SKIP_1) | instid1(VALU_DEP_1)
	v_fma_f64 v[48:49], v[50:51], v[0:1], v[48:49]
	v_mul_f64_e32 v[0:1], v[52:53], v[0:1]
	v_fma_f64 v[50:51], v[50:51], v[2:3], -v[0:1]
	ds_load_b128 v[0:3], v199 offset:3072
	s_wait_dscnt 0x0
	v_mul_f64_e32 v[52:53], v[26:27], v[2:3]
	s_delay_alu instid0(VALU_DEP_1) | instskip(SKIP_1) | instid1(VALU_DEP_1)
	v_fma_f64 v[52:53], v[24:25], v[0:1], v[52:53]
	v_mul_f64_e32 v[0:1], v[26:27], v[0:1]
	v_fma_f64 v[24:25], v[24:25], v[2:3], -v[0:1]
	ds_load_b128 v[0:3], v199 offset:9216
	s_wait_dscnt 0x0
	v_mul_f64_e32 v[26:27], v[30:31], v[2:3]
	s_delay_alu instid0(VALU_DEP_1) | instskip(SKIP_1) | instid1(VALU_DEP_1)
	v_fma_f64 v[26:27], v[28:29], v[0:1], v[26:27]
	v_mul_f64_e32 v[0:1], v[30:31], v[0:1]
	v_fma_f64 v[28:29], v[28:29], v[2:3], -v[0:1]
	ds_load_b128 v[0:3], v199 offset:15360
	s_wait_dscnt 0x0
	v_mul_f64_e32 v[30:31], v[34:35], v[2:3]
	s_delay_alu instid0(VALU_DEP_1) | instskip(SKIP_1) | instid1(VALU_DEP_1)
	v_fma_f64 v[30:31], v[32:33], v[0:1], v[30:31]
	v_mul_f64_e32 v[0:1], v[34:35], v[0:1]
	v_fma_f64 v[32:33], v[32:33], v[2:3], -v[0:1]
	ds_load_b128 v[0:3], v199 offset:21504
	s_wait_dscnt 0x0
	v_mul_f64_e32 v[34:35], v[38:39], v[2:3]
	s_delay_alu instid0(VALU_DEP_1) | instskip(SKIP_1) | instid1(VALU_DEP_1)
	v_fma_f64 v[34:35], v[36:37], v[0:1], v[34:35]
	v_mul_f64_e32 v[0:1], v[38:39], v[0:1]
	v_fma_f64 v[36:37], v[36:37], v[2:3], -v[0:1]
	ds_load_b128 v[0:3], v199 offset:27648
	s_wait_dscnt 0x0
	v_mul_f64_e32 v[38:39], v[42:43], v[2:3]
	s_delay_alu instid0(VALU_DEP_1) | instskip(SKIP_1) | instid1(VALU_DEP_1)
	v_fma_f64 v[38:39], v[40:41], v[0:1], v[38:39]
	v_mul_f64_e32 v[0:1], v[42:43], v[0:1]
	v_fma_f64 v[40:41], v[40:41], v[2:3], -v[0:1]
	ds_load_b128 v[0:3], v199 offset:33792
	s_wait_dscnt 0x0
	v_mul_f64_e32 v[42:43], v[46:47], v[2:3]
	s_delay_alu instid0(VALU_DEP_1) | instskip(SKIP_1) | instid1(VALU_DEP_1)
	v_fma_f64 v[42:43], v[44:45], v[0:1], v[42:43]
	v_mul_f64_e32 v[0:1], v[46:47], v[0:1]
	v_fma_f64 v[44:45], v[44:45], v[2:3], -v[0:1]
	scratch_load_b64 v[1:2], off, off th:TH_LOAD_LU ; 8-byte Folded Reload
	s_wait_loadcnt 0x0
	s_wait_alu 0xfffe
	v_mul_f64_e32 v[2:3], s[2:3], v[6:7]
	v_mad_co_u64_u32 v[46:47], null, s6, v1, 0
	s_mul_i32 s6, s5, 0x3000
	s_delay_alu instid0(VALU_DEP_1) | instskip(NEXT) | instid1(VALU_DEP_1)
	v_mov_b32_e32 v0, v47
	v_mad_co_u64_u32 v[0:1], null, s7, v1, v[0:1]
	s_delay_alu instid0(VALU_DEP_1) | instskip(SKIP_2) | instid1(VALU_DEP_1)
	v_mov_b32_e32 v47, v0
	v_mul_f64_e32 v[0:1], s[2:3], v[4:5]
	v_mad_co_u64_u32 v[4:5], null, s4, v197, 0
	v_mad_co_u64_u32 v[5:6], null, s5, v197, v[5:6]
	s_delay_alu instid0(VALU_DEP_4) | instskip(NEXT) | instid1(VALU_DEP_2)
	v_lshlrev_b64_e32 v[6:7], 4, v[46:47]
	v_lshlrev_b64_e32 v[4:5], 4, v[4:5]
	s_delay_alu instid0(VALU_DEP_2) | instskip(SKIP_1) | instid1(VALU_DEP_3)
	v_add_co_u32 v46, vcc_lo, s0, v6
	s_wait_alu 0xfffd
	v_add_co_ci_u32_e32 v47, vcc_lo, s1, v7, vcc_lo
	s_mul_u64 s[0:1], s[4:5], 0x1800
	s_delay_alu instid0(VALU_DEP_2) | instskip(SKIP_1) | instid1(VALU_DEP_2)
	v_add_co_u32 v4, vcc_lo, v46, v4
	s_wait_alu 0xfffd
	v_add_co_ci_u32_e32 v5, vcc_lo, v47, v5, vcc_lo
	v_mad_co_u64_u32 v[6:7], null, s4, v200, 0
	global_store_b128 v[4:5], v[0:3], off
	v_mul_f64_e32 v[0:1], s[2:3], v[8:9]
	v_mul_f64_e32 v[2:3], s[2:3], v[10:11]
	s_wait_alu 0xfffe
	v_add_co_u32 v4, vcc_lo, v4, s0
	s_wait_alu 0xfffd
	v_add_co_ci_u32_e32 v5, vcc_lo, s1, v5, vcc_lo
	v_mad_co_u64_u32 v[7:8], null, s5, v200, v[7:8]
	s_delay_alu instid0(VALU_DEP_2) | instskip(NEXT) | instid1(VALU_DEP_2)
	v_mad_co_u64_u32 v[8:9], null, 0x3000, s4, v[4:5]
	v_lshlrev_b64_e32 v[6:7], 4, v[6:7]
	s_delay_alu instid0(VALU_DEP_2) | instskip(NEXT) | instid1(VALU_DEP_2)
	v_add_nc_u32_e32 v9, s6, v9
	v_add_co_u32 v6, vcc_lo, v46, v6
	s_wait_alu 0xfffd
	s_delay_alu instid0(VALU_DEP_3)
	v_add_co_ci_u32_e32 v7, vcc_lo, v47, v7, vcc_lo
	global_store_b128 v[4:5], v[0:3], off
	v_mul_f64_e32 v[0:1], s[2:3], v[12:13]
	v_mul_f64_e32 v[2:3], s[2:3], v[14:15]
	;; [unrolled: 1-line block ×5, first 2 shown]
	global_store_b128 v[6:7], v[0:3], off
	v_mul_f64_e32 v[0:1], s[2:3], v[16:17]
	v_mul_f64_e32 v[2:3], s[2:3], v[18:19]
	v_mul_f64_e32 v[6:7], s[2:3], v[50:51]
	v_mul_f64_e32 v[16:17], s[2:3], v[34:35]
	v_mul_f64_e32 v[18:19], s[2:3], v[36:37]
	global_store_b128 v[8:9], v[0:3], off
	v_mad_co_u64_u32 v[0:1], null, s4, v198, 0
	s_delay_alu instid0(VALU_DEP_1) | instskip(SKIP_2) | instid1(VALU_DEP_3)
	v_mad_co_u64_u32 v[1:2], null, s5, v198, v[1:2]
	v_mul_f64_e32 v[2:3], s[2:3], v[22:23]
	v_mul_f64_e32 v[22:23], s[2:3], v[40:41]
	v_lshlrev_b64_e32 v[0:1], 4, v[0:1]
	s_delay_alu instid0(VALU_DEP_1) | instskip(SKIP_1) | instid1(VALU_DEP_2)
	v_add_co_u32 v10, vcc_lo, v46, v0
	s_wait_alu 0xfffd
	v_add_co_ci_u32_e32 v11, vcc_lo, v47, v1, vcc_lo
	v_mul_f64_e32 v[0:1], s[2:3], v[20:21]
	v_mad_co_u64_u32 v[46:47], null, 0x3000, s4, v[8:9]
	v_mul_f64_e32 v[8:9], s[2:3], v[26:27]
	v_mul_f64_e32 v[20:21], s[2:3], v[38:39]
	;; [unrolled: 1-line block ×3, first 2 shown]
	s_delay_alu instid0(VALU_DEP_4) | instskip(NEXT) | instid1(VALU_DEP_1)
	v_add_nc_u32_e32 v47, s6, v47
	v_mad_co_u64_u32 v[48:49], null, 0xffff9400, s4, v[46:47]
	global_store_b128 v[10:11], v[0:3], off
	v_mul_f64_e32 v[0:1], s[2:3], v[52:53]
	v_mul_f64_e32 v[2:3], s[2:3], v[24:25]
	;; [unrolled: 1-line block ×4, first 2 shown]
	s_mul_i32 s2, s5, 0xffff9400
	v_add_co_u32 v28, vcc_lo, v48, s0
	s_wait_alu 0xfffe
	s_sub_co_i32 s2, s2, s4
	global_store_b128 v[46:47], v[4:7], off
	s_wait_alu 0xfffe
	v_add_nc_u32_e32 v49, s2, v49
	s_wait_alu 0xfffd
	s_delay_alu instid0(VALU_DEP_1) | instskip(SKIP_2) | instid1(VALU_DEP_2)
	v_add_co_ci_u32_e32 v29, vcc_lo, s1, v49, vcc_lo
	v_add_co_u32 v30, vcc_lo, v28, s0
	s_wait_alu 0xfffd
	v_add_co_ci_u32_e32 v31, vcc_lo, s1, v29, vcc_lo
	s_delay_alu instid0(VALU_DEP_2) | instskip(SKIP_1) | instid1(VALU_DEP_2)
	v_add_co_u32 v4, vcc_lo, v30, s0
	s_wait_alu 0xfffd
	v_add_co_ci_u32_e32 v5, vcc_lo, s1, v31, vcc_lo
	s_delay_alu instid0(VALU_DEP_2) | instskip(SKIP_1) | instid1(VALU_DEP_2)
	;; [unrolled: 4-line block ×3, first 2 shown]
	v_add_co_u32 v32, vcc_lo, v6, s0
	s_wait_alu 0xfffd
	v_add_co_ci_u32_e32 v33, vcc_lo, s1, v7, vcc_lo
	global_store_b128 v[48:49], v[0:3], off
	global_store_b128 v[28:29], v[8:11], off
	;; [unrolled: 1-line block ×6, first 2 shown]
.LBB0_2:
	s_nop 0
	s_sendmsg sendmsg(MSG_DEALLOC_VGPRS)
	s_endpgm
	.section	.rodata,"a",@progbits
	.p2align	6, 0x0
	.amdhsa_kernel bluestein_single_fwd_len2304_dim1_dp_op_CI_CI
		.amdhsa_group_segment_fixed_size 36864
		.amdhsa_private_segment_fixed_size 108
		.amdhsa_kernarg_size 104
		.amdhsa_user_sgpr_count 2
		.amdhsa_user_sgpr_dispatch_ptr 0
		.amdhsa_user_sgpr_queue_ptr 0
		.amdhsa_user_sgpr_kernarg_segment_ptr 1
		.amdhsa_user_sgpr_dispatch_id 0
		.amdhsa_user_sgpr_private_segment_size 0
		.amdhsa_wavefront_size32 1
		.amdhsa_uses_dynamic_stack 0
		.amdhsa_enable_private_segment 1
		.amdhsa_system_sgpr_workgroup_id_x 1
		.amdhsa_system_sgpr_workgroup_id_y 0
		.amdhsa_system_sgpr_workgroup_id_z 0
		.amdhsa_system_sgpr_workgroup_info 0
		.amdhsa_system_vgpr_workitem_id 0
		.amdhsa_next_free_vgpr 256
		.amdhsa_next_free_sgpr 20
		.amdhsa_reserve_vcc 1
		.amdhsa_float_round_mode_32 0
		.amdhsa_float_round_mode_16_64 0
		.amdhsa_float_denorm_mode_32 3
		.amdhsa_float_denorm_mode_16_64 3
		.amdhsa_fp16_overflow 0
		.amdhsa_workgroup_processor_mode 1
		.amdhsa_memory_ordered 1
		.amdhsa_forward_progress 0
		.amdhsa_round_robin_scheduling 0
		.amdhsa_exception_fp_ieee_invalid_op 0
		.amdhsa_exception_fp_denorm_src 0
		.amdhsa_exception_fp_ieee_div_zero 0
		.amdhsa_exception_fp_ieee_overflow 0
		.amdhsa_exception_fp_ieee_underflow 0
		.amdhsa_exception_fp_ieee_inexact 0
		.amdhsa_exception_int_div_zero 0
	.end_amdhsa_kernel
	.text
.Lfunc_end0:
	.size	bluestein_single_fwd_len2304_dim1_dp_op_CI_CI, .Lfunc_end0-bluestein_single_fwd_len2304_dim1_dp_op_CI_CI
                                        ; -- End function
	.section	.AMDGPU.csdata,"",@progbits
; Kernel info:
; codeLenInByte = 14840
; NumSgprs: 22
; NumVgprs: 256
; ScratchSize: 108
; MemoryBound: 0
; FloatMode: 240
; IeeeMode: 1
; LDSByteSize: 36864 bytes/workgroup (compile time only)
; SGPRBlocks: 2
; VGPRBlocks: 31
; NumSGPRsForWavesPerEU: 22
; NumVGPRsForWavesPerEU: 256
; Occupancy: 5
; WaveLimiterHint : 1
; COMPUTE_PGM_RSRC2:SCRATCH_EN: 1
; COMPUTE_PGM_RSRC2:USER_SGPR: 2
; COMPUTE_PGM_RSRC2:TRAP_HANDLER: 0
; COMPUTE_PGM_RSRC2:TGID_X_EN: 1
; COMPUTE_PGM_RSRC2:TGID_Y_EN: 0
; COMPUTE_PGM_RSRC2:TGID_Z_EN: 0
; COMPUTE_PGM_RSRC2:TIDIG_COMP_CNT: 0
	.text
	.p2alignl 7, 3214868480
	.fill 96, 4, 3214868480
	.type	__hip_cuid_fbc8a55ac80de5d0,@object ; @__hip_cuid_fbc8a55ac80de5d0
	.section	.bss,"aw",@nobits
	.globl	__hip_cuid_fbc8a55ac80de5d0
__hip_cuid_fbc8a55ac80de5d0:
	.byte	0                               ; 0x0
	.size	__hip_cuid_fbc8a55ac80de5d0, 1

	.ident	"AMD clang version 19.0.0git (https://github.com/RadeonOpenCompute/llvm-project roc-6.4.0 25133 c7fe45cf4b819c5991fe208aaa96edf142730f1d)"
	.section	".note.GNU-stack","",@progbits
	.addrsig
	.addrsig_sym __hip_cuid_fbc8a55ac80de5d0
	.amdgpu_metadata
---
amdhsa.kernels:
  - .args:
      - .actual_access:  read_only
        .address_space:  global
        .offset:         0
        .size:           8
        .value_kind:     global_buffer
      - .actual_access:  read_only
        .address_space:  global
        .offset:         8
        .size:           8
        .value_kind:     global_buffer
      - .actual_access:  read_only
        .address_space:  global
        .offset:         16
        .size:           8
        .value_kind:     global_buffer
      - .actual_access:  read_only
        .address_space:  global
        .offset:         24
        .size:           8
        .value_kind:     global_buffer
      - .actual_access:  read_only
        .address_space:  global
        .offset:         32
        .size:           8
        .value_kind:     global_buffer
      - .offset:         40
        .size:           8
        .value_kind:     by_value
      - .address_space:  global
        .offset:         48
        .size:           8
        .value_kind:     global_buffer
      - .address_space:  global
        .offset:         56
        .size:           8
        .value_kind:     global_buffer
      - .address_space:  global
        .offset:         64
        .size:           8
        .value_kind:     global_buffer
      - .address_space:  global
        .offset:         72
        .size:           8
        .value_kind:     global_buffer
      - .offset:         80
        .size:           4
        .value_kind:     by_value
      - .address_space:  global
        .offset:         88
        .size:           8
        .value_kind:     global_buffer
      - .address_space:  global
        .offset:         96
        .size:           8
        .value_kind:     global_buffer
    .group_segment_fixed_size: 36864
    .kernarg_segment_align: 8
    .kernarg_segment_size: 104
    .language:       OpenCL C
    .language_version:
      - 2
      - 0
    .max_flat_workgroup_size: 192
    .name:           bluestein_single_fwd_len2304_dim1_dp_op_CI_CI
    .private_segment_fixed_size: 108
    .sgpr_count:     22
    .sgpr_spill_count: 0
    .symbol:         bluestein_single_fwd_len2304_dim1_dp_op_CI_CI.kd
    .uniform_work_group_size: 1
    .uses_dynamic_stack: false
    .vgpr_count:     256
    .vgpr_spill_count: 26
    .wavefront_size: 32
    .workgroup_processor_mode: 1
amdhsa.target:   amdgcn-amd-amdhsa--gfx1201
amdhsa.version:
  - 1
  - 2
...

	.end_amdgpu_metadata
